;; amdgpu-corpus repo=ROCm/rocFFT kind=compiled arch=gfx906 opt=O3
	.text
	.amdgcn_target "amdgcn-amd-amdhsa--gfx906"
	.amdhsa_code_object_version 6
	.protected	bluestein_single_back_len952_dim1_half_op_CI_CI ; -- Begin function bluestein_single_back_len952_dim1_half_op_CI_CI
	.globl	bluestein_single_back_len952_dim1_half_op_CI_CI
	.p2align	8
	.type	bluestein_single_back_len952_dim1_half_op_CI_CI,@function
bluestein_single_back_len952_dim1_half_op_CI_CI: ; @bluestein_single_back_len952_dim1_half_op_CI_CI
; %bb.0:
	s_mov_b64 s[50:51], s[2:3]
	v_mul_u32_u24_e32 v1, 0x3c4, v0
	s_mov_b64 s[48:49], s[0:1]
	s_load_dwordx4 s[0:3], s[4:5], 0x28
	v_lshrrev_b32_e32 v1, 16, v1
	s_add_u32 s48, s48, s7
	v_mad_u64_u32 v[20:21], s[6:7], s6, 3, v[1:2]
	v_mov_b32_e32 v21, 0
	s_addc_u32 s49, s49, 0
	s_waitcnt lgkmcnt(0)
	v_cmp_gt_u64_e32 vcc, s[0:1], v[20:21]
	s_and_saveexec_b64 s[0:1], vcc
	s_cbranch_execz .LBB0_23
; %bb.1:
	s_mov_b32 s0, 0xaaaaaaab
	v_mul_hi_u32 v2, v20, s0
	v_mul_lo_u16_e32 v1, 0x44, v1
	s_load_dwordx2 s[6:7], s[4:5], 0x0
	s_load_dwordx2 s[12:13], s[4:5], 0x38
	v_sub_u16_e32 v233, v0, v1
	v_lshrrev_b32_e32 v0, 1, v2
	v_lshl_add_u32 v0, v0, 1, v0
	v_sub_u32_e32 v0, v20, v0
	v_mul_u32_u24_e32 v31, 0x3b8, v0
	v_cmp_gt_u16_e32 vcc, 56, v233
	v_lshlrev_b32_e32 v42, 2, v233
	v_lshlrev_b32_e32 v232, 2, v31
	s_and_saveexec_b64 s[14:15], vcc
	s_cbranch_execz .LBB0_3
; %bb.2:
	s_load_dwordx2 s[0:1], s[4:5], 0x18
	v_or_b32_e32 v22, 0x1c0, v233
	v_lshl_add_u32 v16, v233, 2, v232
	v_add_u32_e32 v17, v232, v42
	s_waitcnt lgkmcnt(0)
	s_load_dwordx4 s[8:11], s[0:1], 0x0
	s_waitcnt lgkmcnt(0)
	v_mad_u64_u32 v[0:1], s[0:1], s10, v20, 0
	v_mad_u64_u32 v[2:3], s[0:1], s8, v233, 0
	;; [unrolled: 1-line block ×4, first 2 shown]
	v_mov_b32_e32 v1, v4
	v_lshlrev_b64 v[0:1], 2, v[0:1]
	v_mov_b32_e32 v3, v5
	v_mov_b32_e32 v6, s3
	v_lshlrev_b64 v[2:3], 2, v[2:3]
	v_add_co_u32_e64 v5, s[0:1], s2, v0
	v_addc_co_u32_e64 v6, s[0:1], v6, v1, s[0:1]
	v_add_co_u32_e64 v0, s[0:1], v5, v2
	v_addc_co_u32_e64 v1, s[0:1], v6, v3, s[0:1]
	s_mul_i32 s0, s9, 0xe0
	s_mul_hi_u32 s3, s8, 0xe0
	s_add_i32 s3, s3, s0
	s_mul_i32 s2, s8, 0xe0
	v_mov_b32_e32 v3, s3
	v_add_co_u32_e64 v2, s[0:1], s2, v0
	v_addc_co_u32_e64 v3, s[0:1], v1, v3, s[0:1]
	global_load_dword v4, v[0:1], off
	global_load_dword v7, v[2:3], off
	global_load_dword v8, v42, s[6:7]
	global_load_dword v9, v42, s[6:7] offset:224
	v_mov_b32_e32 v1, s3
	v_add_co_u32_e64 v0, s[0:1], s2, v2
	v_addc_co_u32_e64 v1, s[0:1], v3, v1, s[0:1]
	global_load_dword v10, v[0:1], off
	global_load_dword v11, v42, s[6:7] offset:448
	v_mov_b32_e32 v2, s3
	v_add_co_u32_e64 v0, s[0:1], s2, v0
	v_addc_co_u32_e64 v1, s[0:1], v1, v2, s[0:1]
	global_load_dword v12, v[0:1], off
	global_load_dword v13, v42, s[6:7] offset:672
	v_add_co_u32_e64 v0, s[0:1], s2, v0
	v_addc_co_u32_e64 v1, s[0:1], v1, v2, s[0:1]
	global_load_dword v14, v[0:1], off
	global_load_dword v15, v42, s[6:7] offset:896
	v_mad_u64_u32 v[2:3], s[0:1], s8, v22, 0
	v_mov_b32_e32 v23, s3
	v_add_co_u32_e64 v0, s[0:1], s2, v0
	v_addc_co_u32_e64 v1, s[0:1], v1, v23, s[0:1]
	global_load_dword v18, v42, s[6:7] offset:1120
	global_load_dword v19, v42, s[6:7] offset:1344
	;; [unrolled: 1-line block ×3, first 2 shown]
	global_load_dword v23, v[0:1], off
	v_mov_b32_e32 v24, s3
	v_add_co_u32_e64 v0, s[0:1], s2, v0
	v_addc_co_u32_e64 v1, s[0:1], v1, v24, s[0:1]
	global_load_dword v24, v[0:1], off
	v_mov_b32_e32 v25, s3
	v_mov_b32_e32 v35, s3
	s_waitcnt vmcnt(14)
	v_lshrrev_b32_e32 v26, 16, v4
	s_waitcnt vmcnt(12)
	v_mul_f16_sdwa v27, v8, v4 dst_sel:DWORD dst_unused:UNUSED_PAD src0_sel:WORD_1 src1_sel:DWORD
	v_mul_f16_sdwa v28, v8, v26 dst_sel:DWORD dst_unused:UNUSED_PAD src0_sel:WORD_1 src1_sel:DWORD
	v_fma_f16 v26, v8, v26, -v27
	v_lshrrev_b32_e32 v27, 16, v7
	s_waitcnt vmcnt(11)
	v_mul_f16_sdwa v29, v9, v7 dst_sel:DWORD dst_unused:UNUSED_PAD src0_sel:WORD_1 src1_sel:DWORD
	v_fma_f16 v4, v8, v4, v28
	v_mul_f16_sdwa v8, v9, v27 dst_sel:DWORD dst_unused:UNUSED_PAD src0_sel:WORD_1 src1_sel:DWORD
	s_waitcnt vmcnt(10)
	v_lshrrev_b32_e32 v28, 16, v10
	v_fma_f16 v27, v9, v27, -v29
	s_waitcnt vmcnt(9)
	v_mul_f16_sdwa v29, v11, v10 dst_sel:DWORD dst_unused:UNUSED_PAD src0_sel:WORD_1 src1_sel:DWORD
	v_pack_b32_f16 v4, v4, v26
	v_fma_f16 v7, v9, v7, v8
	v_mul_f16_sdwa v8, v11, v28 dst_sel:DWORD dst_unused:UNUSED_PAD src0_sel:WORD_1 src1_sel:DWORD
	v_fma_f16 v9, v11, v28, -v29
	ds_write_b32 v16, v4
	v_pack_b32_f16 v4, v7, v27
	v_fma_f16 v7, v11, v10, v8
	v_pack_b32_f16 v7, v7, v9
	ds_write2_b32 v17, v4, v7 offset0:56 offset1:112
	v_mad_u64_u32 v[3:4], s[0:1], s9, v22, v[3:4]
	s_waitcnt vmcnt(8)
	v_lshrrev_b32_e32 v26, 16, v12
	s_waitcnt vmcnt(7)
	v_mul_f16_sdwa v28, v13, v12 dst_sel:DWORD dst_unused:UNUSED_PAD src0_sel:WORD_1 src1_sel:DWORD
	v_mul_f16_sdwa v8, v13, v26 dst_sel:DWORD dst_unused:UNUSED_PAD src0_sel:WORD_1 src1_sel:DWORD
	s_waitcnt vmcnt(6)
	v_lshrrev_b32_e32 v11, 16, v14
	v_add_co_u32_e64 v0, s[0:1], s2, v0
	v_fma_f16 v10, v13, v26, -v28
	v_fma_f16 v8, v13, v12, v8
	s_waitcnt vmcnt(5)
	v_mul_f16_sdwa v9, v15, v11 dst_sel:DWORD dst_unused:UNUSED_PAD src0_sel:WORD_1 src1_sel:DWORD
	v_addc_co_u32_e64 v1, s[0:1], v1, v25, s[0:1]
	v_lshlrev_b64 v[2:3], 2, v[2:3]
	v_pack_b32_f16 v7, v8, v10
	v_fma_f16 v8, v15, v14, v9
	global_load_dword v9, v[0:1], off
	v_add_co_u32_e64 v2, s[0:1], v5, v2
	v_mov_b32_e32 v4, 0x1c0
	v_addc_co_u32_e64 v3, s[0:1], v6, v3, s[0:1]
	v_mad_u64_u32 v[0:1], s[0:1], s8, v4, v[0:1]
	global_load_dword v10, v[2:3], off
	global_load_dword v12, v42, s[6:7] offset:1792
	s_mul_i32 s0, s9, 0x1c0
	v_add_u32_e32 v1, s0, v1
	global_load_dword v13, v[0:1], off
	v_mov_b32_e32 v2, s3
	v_add_co_u32_e64 v0, s[0:1], s2, v0
	v_addc_co_u32_e64 v1, s[0:1], v1, v2, s[0:1]
	v_mul_f16_sdwa v16, v15, v14 dst_sel:DWORD dst_unused:UNUSED_PAD src0_sel:WORD_1 src1_sel:DWORD
	global_load_dword v14, v[0:1], off
	global_load_dword v22, v42, s[6:7] offset:2016
	global_load_dword v25, v42, s[6:7] offset:2240
	v_add_co_u32_e64 v0, s[0:1], s2, v0
	v_addc_co_u32_e64 v1, s[0:1], v1, v2, s[0:1]
	global_load_dword v26, v[0:1], off
	v_add_co_u32_e64 v0, s[0:1], s2, v0
	v_addc_co_u32_e64 v1, s[0:1], v1, v2, s[0:1]
	global_load_dword v27, v[0:1], off
	global_load_dword v28, v42, s[6:7] offset:2464
	global_load_dword v29, v42, s[6:7] offset:2688
	v_add_co_u32_e64 v0, s[0:1], s2, v0
	v_addc_co_u32_e64 v1, s[0:1], v1, v2, s[0:1]
	global_load_dword v30, v[0:1], off
	v_add_co_u32_e64 v0, s[0:1], s2, v0
	v_or_b32_e32 v4, 0x380, v233
	v_addc_co_u32_e64 v1, s[0:1], v1, v2, s[0:1]
	v_mad_u64_u32 v[2:3], s[0:1], s8, v4, 0
	global_load_dword v32, v42, s[6:7] offset:2912
	global_load_dword v33, v[0:1], off
	global_load_dword v34, v42, s[6:7] offset:3136
	v_mad_u64_u32 v[3:4], s[0:1], s9, v4, v[3:4]
	v_add_co_u32_e64 v0, s[0:1], s2, v0
	v_addc_co_u32_e64 v1, s[0:1], v1, v35, s[0:1]
	global_load_dword v4, v[0:1], off
	global_load_dword v35, v42, s[6:7] offset:3360
	v_lshlrev_b64 v[0:1], 2, v[2:3]
	v_add_co_u32_e64 v0, s[0:1], v5, v0
	v_addc_co_u32_e64 v1, s[0:1], v6, v1, s[0:1]
	global_load_dword v2, v[0:1], off
	global_load_dword v3, v42, s[6:7] offset:3584
	v_fma_f16 v0, v15, v11, -v16
	v_pack_b32_f16 v0, v8, v0
	ds_write2_b32 v17, v7, v0 offset0:168 offset1:224
	s_waitcnt vmcnt(20)
	v_lshrrev_b32_e32 v0, 16, v23
	v_mul_f16_sdwa v1, v18, v0 dst_sel:DWORD dst_unused:UNUSED_PAD src0_sel:WORD_1 src1_sel:DWORD
	v_mul_f16_sdwa v5, v18, v23 dst_sel:DWORD dst_unused:UNUSED_PAD src0_sel:WORD_1 src1_sel:DWORD
	v_fma_f16 v1, v18, v23, v1
	v_fma_f16 v0, v18, v0, -v5
	v_pack_b32_f16 v0, v1, v0
	s_waitcnt vmcnt(19)
	v_lshrrev_b32_e32 v1, 16, v24
	v_mul_f16_sdwa v5, v19, v1 dst_sel:DWORD dst_unused:UNUSED_PAD src0_sel:WORD_1 src1_sel:DWORD
	v_mul_f16_sdwa v6, v19, v24 dst_sel:DWORD dst_unused:UNUSED_PAD src0_sel:WORD_1 src1_sel:DWORD
	v_fma_f16 v5, v19, v24, v5
	v_fma_f16 v1, v19, v1, -v6
	v_pack_b32_f16 v1, v5, v1
	v_add_u32_e32 v5, 0x400, v17
	ds_write2_b32 v5, v0, v1 offset0:24 offset1:80
	s_waitcnt vmcnt(18)
	v_lshrrev_b32_e32 v0, 16, v9
	v_mul_f16_sdwa v1, v21, v0 dst_sel:DWORD dst_unused:UNUSED_PAD src0_sel:WORD_1 src1_sel:DWORD
	v_mul_f16_sdwa v6, v21, v9 dst_sel:DWORD dst_unused:UNUSED_PAD src0_sel:WORD_1 src1_sel:DWORD
	v_fma_f16 v1, v21, v9, v1
	v_fma_f16 v0, v21, v0, -v6
	v_pack_b32_f16 v0, v1, v0
	s_waitcnt vmcnt(17)
	v_lshrrev_b32_e32 v1, 16, v10
	s_waitcnt vmcnt(16)
	v_mul_f16_sdwa v6, v12, v1 dst_sel:DWORD dst_unused:UNUSED_PAD src0_sel:WORD_1 src1_sel:DWORD
	v_mul_f16_sdwa v7, v12, v10 dst_sel:DWORD dst_unused:UNUSED_PAD src0_sel:WORD_1 src1_sel:DWORD
	v_fma_f16 v6, v12, v10, v6
	v_fma_f16 v1, v12, v1, -v7
	v_pack_b32_f16 v1, v6, v1
	ds_write2_b32 v5, v0, v1 offset0:136 offset1:192
	s_waitcnt vmcnt(15)
	v_lshrrev_b32_e32 v0, 16, v13
	s_waitcnt vmcnt(13)
	v_mul_f16_sdwa v1, v22, v0 dst_sel:DWORD dst_unused:UNUSED_PAD src0_sel:WORD_1 src1_sel:DWORD
	v_mul_f16_sdwa v5, v22, v13 dst_sel:DWORD dst_unused:UNUSED_PAD src0_sel:WORD_1 src1_sel:DWORD
	v_fma_f16 v1, v22, v13, v1
	v_fma_f16 v0, v22, v0, -v5
	v_pack_b32_f16 v0, v1, v0
	v_lshrrev_b32_e32 v1, 16, v14
	s_waitcnt vmcnt(12)
	v_mul_f16_sdwa v5, v25, v1 dst_sel:DWORD dst_unused:UNUSED_PAD src0_sel:WORD_1 src1_sel:DWORD
	v_mul_f16_sdwa v6, v25, v14 dst_sel:DWORD dst_unused:UNUSED_PAD src0_sel:WORD_1 src1_sel:DWORD
	v_fma_f16 v5, v25, v14, v5
	v_fma_f16 v1, v25, v1, -v6
	v_pack_b32_f16 v1, v5, v1
	v_add_u32_e32 v5, 0x600, v17
	ds_write2_b32 v5, v0, v1 offset0:120 offset1:176
	s_waitcnt vmcnt(11)
	v_lshrrev_b32_e32 v0, 16, v26
	s_waitcnt vmcnt(9)
	v_mul_f16_sdwa v1, v28, v0 dst_sel:DWORD dst_unused:UNUSED_PAD src0_sel:WORD_1 src1_sel:DWORD
	v_mul_f16_sdwa v5, v28, v26 dst_sel:DWORD dst_unused:UNUSED_PAD src0_sel:WORD_1 src1_sel:DWORD
	v_fma_f16 v1, v28, v26, v1
	v_fma_f16 v0, v28, v0, -v5
	v_pack_b32_f16 v0, v1, v0
	v_lshrrev_b32_e32 v1, 16, v27
	s_waitcnt vmcnt(8)
	v_mul_f16_sdwa v5, v29, v1 dst_sel:DWORD dst_unused:UNUSED_PAD src0_sel:WORD_1 src1_sel:DWORD
	v_mul_f16_sdwa v6, v29, v27 dst_sel:DWORD dst_unused:UNUSED_PAD src0_sel:WORD_1 src1_sel:DWORD
	v_fma_f16 v5, v29, v27, v5
	v_fma_f16 v1, v29, v1, -v6
	v_pack_b32_f16 v1, v5, v1
	v_add_u32_e32 v5, 0x800, v17
	ds_write2_b32 v5, v0, v1 offset0:104 offset1:160
	s_waitcnt vmcnt(7)
	v_lshrrev_b32_e32 v0, 16, v30
	s_waitcnt vmcnt(6)
	v_mul_f16_sdwa v1, v32, v0 dst_sel:DWORD dst_unused:UNUSED_PAD src0_sel:WORD_1 src1_sel:DWORD
	v_mul_f16_sdwa v5, v32, v30 dst_sel:DWORD dst_unused:UNUSED_PAD src0_sel:WORD_1 src1_sel:DWORD
	v_fma_f16 v1, v32, v30, v1
	v_fma_f16 v0, v32, v0, -v5
	v_pack_b32_f16 v0, v1, v0
	s_waitcnt vmcnt(5)
	v_lshrrev_b32_e32 v1, 16, v33
	s_waitcnt vmcnt(4)
	v_mul_f16_sdwa v5, v34, v1 dst_sel:DWORD dst_unused:UNUSED_PAD src0_sel:WORD_1 src1_sel:DWORD
	v_mul_f16_sdwa v6, v34, v33 dst_sel:DWORD dst_unused:UNUSED_PAD src0_sel:WORD_1 src1_sel:DWORD
	v_fma_f16 v5, v34, v33, v5
	v_fma_f16 v1, v34, v1, -v6
	v_pack_b32_f16 v1, v5, v1
	v_add_u32_e32 v5, 0xa00, v17
	ds_write2_b32 v5, v0, v1 offset0:88 offset1:144
	s_waitcnt vmcnt(3)
	v_lshrrev_b32_e32 v0, 16, v4
	s_waitcnt vmcnt(2)
	v_mul_f16_sdwa v1, v35, v0 dst_sel:DWORD dst_unused:UNUSED_PAD src0_sel:WORD_1 src1_sel:DWORD
	v_fma_f16 v1, v35, v4, v1
	v_mul_f16_sdwa v4, v35, v4 dst_sel:DWORD dst_unused:UNUSED_PAD src0_sel:WORD_1 src1_sel:DWORD
	v_fma_f16 v0, v35, v0, -v4
	v_pack_b32_f16 v0, v1, v0
	s_waitcnt vmcnt(1)
	v_lshrrev_b32_e32 v1, 16, v2
	s_waitcnt vmcnt(0)
	v_mul_f16_sdwa v4, v3, v1 dst_sel:DWORD dst_unused:UNUSED_PAD src0_sel:WORD_1 src1_sel:DWORD
	v_fma_f16 v4, v3, v2, v4
	v_mul_f16_sdwa v2, v3, v2 dst_sel:DWORD dst_unused:UNUSED_PAD src0_sel:WORD_1 src1_sel:DWORD
	v_fma_f16 v1, v3, v1, -v2
	v_pack_b32_f16 v1, v4, v1
	v_add_u32_e32 v2, 0xc00, v17
	ds_write2_b32 v2, v0, v1 offset0:72 offset1:128
.LBB0_3:
	s_or_b64 exec, exec, s[14:15]
	v_mov_b32_e32 v0, 0
	s_waitcnt lgkmcnt(0)
	s_barrier
	s_waitcnt lgkmcnt(0)
                                        ; implicit-def: $vgpr18
                                        ; implicit-def: $vgpr7
                                        ; implicit-def: $vgpr5
                                        ; implicit-def: $vgpr11
                                        ; implicit-def: $vgpr9
                                        ; implicit-def: $vgpr13
                                        ; implicit-def: $vgpr15
                                        ; implicit-def: $vgpr17
                                        ; implicit-def: $vgpr60
	s_and_saveexec_b64 s[0:1], vcc
	s_cbranch_execz .LBB0_5
; %bb.4:
	v_lshl_add_u32 v2, v31, 2, v42
	v_add_u32_e32 v3, 0x200, v2
	ds_read2_b32 v[0:1], v2 offset1:56
	ds_read2_b32 v[16:17], v2 offset0:112 offset1:168
	ds_read2_b32 v[14:15], v3 offset0:96 offset1:152
	v_add_u32_e32 v3, 0x400, v2
	ds_read2_b32 v[12:13], v3 offset0:80 offset1:136
	ds_read2_b32 v[8:9], v3 offset0:192 offset1:248
	v_add_u32_e32 v3, 0x800, v2
	;; [unrolled: 3-line block ×3, first 2 shown]
	ds_read2_b32 v[6:7], v3 offset0:16 offset1:72
	ds_read_b32 v18, v2 offset:3584
	s_waitcnt lgkmcnt(7)
	v_alignbit_b32 v60, v16, v16, 16
.LBB0_5:
	s_or_b64 exec, exec, s[0:1]
	s_waitcnt lgkmcnt(0)
	v_pk_add_f16 v16, v1, v18 neg_lo:[0,1] neg_hi:[0,1]
	s_mov_b32 s25, 0xbbf7
	v_pk_add_f16 v19, v18, v1
	s_movk_i32 s14, 0x2de8
	v_mul_f16_sdwa v34, v16, s25 dst_sel:DWORD dst_unused:UNUSED_PAD src0_sel:WORD_1 src1_sel:DWORD
	s_mov_b32 s3, 0xbbb2
	v_pk_add_f16 v21, v7, v60 op_sel:[1,0] op_sel_hi:[0,1]
	v_pk_add_f16 v25, v60, v7 op_sel:[1,0] op_sel_hi:[0,1] neg_lo:[0,1] neg_hi:[0,1]
	s_mov_b32 s16, 0xb1e1
	v_fma_f16 v2, v19, s14, v34
	s_mov_b32 s15, 0xb461
	v_mul_f16_sdwa v38, v16, s3 dst_sel:DWORD dst_unused:UNUSED_PAD src0_sel:WORD_1 src1_sel:DWORD
	v_lshrrev_b32_e32 v52, 16, v21
	s_mov_b32 s17, 0xbbdd
	v_mul_f16_sdwa v37, v25, s16 dst_sel:DWORD dst_unused:UNUSED_PAD src0_sel:WORD_1 src1_sel:DWORD
	s_movk_i32 s28, 0x3836
	v_add_f16_e32 v2, v2, v0
	v_fma_f16 v3, v19, s15, v38
	v_fma_f16 v22, v52, s17, v37
	s_mov_b32 s18, 0xbacd
	v_mul_f16_sdwa v51, v25, s28 dst_sel:DWORD dst_unused:UNUSED_PAD src0_sel:WORD_1 src1_sel:DWORD
	v_pk_add_f16 v26, v17, v6 neg_lo:[0,1] neg_hi:[0,1]
	s_movk_i32 s27, 0x3bb2
	v_add_f16_e32 v3, v3, v0
	v_add_f16_e32 v2, v22, v2
	v_fma_f16 v22, v52, s18, v51
	v_pk_add_f16 v27, v6, v17
	v_mul_f16_sdwa v49, v26, s27 dst_sel:DWORD dst_unused:UNUSED_PAD src0_sel:WORD_1 src1_sel:DWORD
	s_movk_i32 s19, 0x3964
	s_movk_i32 s10, 0x39e9
	v_add_f16_e32 v3, v22, v3
	v_fma_f16 v22, v27, s15, v49
	v_mul_f16_sdwa v55, v26, s19 dst_sel:DWORD dst_unused:UNUSED_PAD src0_sel:WORD_1 src1_sel:DWORD
	v_pk_add_f16 v28, v14, v5 neg_lo:[0,1] neg_hi:[0,1]
	s_movk_i32 s20, 0x35c8
	s_movk_i32 s2, 0x3b76
	s_mov_b32 s26, 0xbb29
	v_add_f16_e32 v2, v22, v2
	v_fma_f16 v22, v27, s10, v55
	v_pk_add_f16 v29, v5, v14
	v_mul_f16_sdwa v54, v28, s20 dst_sel:DWORD dst_unused:UNUSED_PAD src0_sel:WORD_1 src1_sel:DWORD
	s_movk_i32 s11, 0x3722
	v_add_f16_e32 v3, v22, v3
	v_fma_f16 v22, v29, s2, v54
	v_mul_f16_sdwa v57, v28, s26 dst_sel:DWORD dst_unused:UNUSED_PAD src0_sel:WORD_1 src1_sel:DWORD
	v_pk_add_f16 v30, v15, v4 neg_lo:[0,1] neg_hi:[0,1]
	v_add_f16_e32 v2, v22, v2
	v_fma_f16 v22, v29, s11, v57
	v_pk_add_f16 v32, v4, v15
	v_mul_f16_sdwa v56, v30, s26 dst_sel:DWORD dst_unused:UNUSED_PAD src0_sel:WORD_1 src1_sel:DWORD
	v_add_f16_e32 v3, v22, v3
	v_fma_f16 v22, v32, s11, v56
	v_mul_f16_sdwa v59, v30, s16 dst_sel:DWORD dst_unused:UNUSED_PAD src0_sel:WORD_1 src1_sel:DWORD
	v_pk_add_f16 v33, v12, v11 neg_lo:[0,1] neg_hi:[0,1]
	s_mov_b32 s22, 0xb836
	v_add_f16_e32 v2, v22, v2
	v_fma_f16 v22, v32, s17, v59
	v_pk_add_f16 v36, v11, v12
	v_mul_f16_sdwa v58, v33, s22 dst_sel:DWORD dst_unused:UNUSED_PAD src0_sel:WORD_1 src1_sel:DWORD
	s_movk_i32 s21, 0x3bf7
	v_add_f16_e32 v3, v22, v3
	v_fma_f16 v22, v36, s18, v58
	v_mul_f16_sdwa v64, v33, s21 dst_sel:DWORD dst_unused:UNUSED_PAD src0_sel:WORD_1 src1_sel:DWORD
	s_movk_i32 s31, 0x3a62
	v_pk_add_f16 v39, v13, v10 neg_lo:[0,1] neg_hi:[0,1]
	v_add_f16_e32 v2, v22, v2
	v_fma_f16 v22, v36, s14, v64
	s_mov_b32 s23, 0xb8d2
	v_pk_add_f16 v48, v10, v13
	v_mul_f16_sdwa v62, v39, s31 dst_sel:DWORD dst_unused:UNUSED_PAD src0_sel:WORD_1 src1_sel:DWORD
	s_mov_b32 s29, 0xb5c8
	v_add_f16_e32 v3, v22, v3
	v_fma_f16 v22, v48, s23, v62
	v_mul_f16_sdwa v68, v39, s29 dst_sel:DWORD dst_unused:UNUSED_PAD src0_sel:WORD_1 src1_sel:DWORD
	v_pk_add_f16 v46, v8, v9 neg_lo:[0,1] neg_hi:[0,1]
	v_add_f16_e32 v2, v22, v2
	v_fma_f16 v22, v48, s2, v68
	s_mov_b32 s24, 0xba62
	v_pk_add_f16 v53, v9, v8
	v_mul_f16_sdwa v69, v46, s19 dst_sel:DWORD dst_unused:UNUSED_PAD src0_sel:WORD_1 src1_sel:DWORD
	v_add_f16_e32 v22, v22, v3
	v_fma_f16 v3, v53, s10, v69
	v_mul_f16_sdwa v80, v46, s24 dst_sel:DWORD dst_unused:UNUSED_PAD src0_sel:WORD_1 src1_sel:DWORD
	v_add_f16_e32 v3, v3, v2
	v_fma_f16 v2, v53, s23, v80
	v_mul_f16_sdwa v61, v16, s29 dst_sel:DWORD dst_unused:UNUSED_PAD src0_sel:WORD_1 src1_sel:DWORD
	s_mov_b32 s33, 0xb964
	v_add_f16_e32 v2, v2, v22
	v_fma_f16 v22, v19, s2, v61
	v_mul_f16_sdwa v63, v25, s33 dst_sel:DWORD dst_unused:UNUSED_PAD src0_sel:WORD_1 src1_sel:DWORD
	v_add_f16_e32 v22, v22, v0
	v_fma_f16 v23, v52, s10, v63
	v_lshrrev_b32_e32 v128, 16, v19
	v_mul_f16_e32 v65, 0xb964, v16
	v_add_f16_e32 v22, v23, v22
	v_fma_f16 v23, v128, s10, -v65
	v_mul_f16_e32 v66, 0xbbf7, v25
	v_add_f16_sdwa v23, v23, v0 dst_sel:DWORD dst_unused:UNUSED_PAD src0_sel:DWORD src1_sel:WORD_1
	v_fma_f16 v24, v21, s14, -v66
	v_mul_f16_sdwa v71, v16, s26 dst_sel:DWORD dst_unused:UNUSED_PAD src0_sel:WORD_1 src1_sel:DWORD
	v_add_f16_e32 v23, v24, v23
	v_fma_f16 v24, v19, s11, v71
	v_mul_f16_sdwa v72, v25, s24 dst_sel:DWORD dst_unused:UNUSED_PAD src0_sel:WORD_1 src1_sel:DWORD
	v_add_f16_e32 v24, v24, v0
	v_fma_f16 v35, v52, s23, v72
	v_mul_f16_e32 v75, 0xbb29, v16
	v_add_f16_e32 v24, v35, v24
	v_fma_f16 v35, v128, s11, -v75
	v_mul_f16_e32 v76, 0xba62, v25
	v_add_f16_sdwa v35, v35, v0 dst_sel:DWORD dst_unused:UNUSED_PAD src0_sel:DWORD src1_sel:WORD_1
	v_fma_f16 v40, v21, s23, -v76
	v_mul_f16_e32 v85, 0xbbf7, v16
	v_add_f16_e32 v35, v40, v35
	v_fma_f16 v40, v128, s14, -v85
	v_mul_f16_e32 v87, 0xb1e1, v25
	v_add_f16_sdwa v40, v40, v0 dst_sel:DWORD dst_unused:UNUSED_PAD src0_sel:DWORD src1_sel:WORD_1
	v_fma_f16 v43, v21, s17, -v87
	;; [unrolled: 6-line block ×3, first 2 shown]
	v_mul_f16_sdwa v67, v26, s26 dst_sel:DWORD dst_unused:UNUSED_PAD src0_sel:WORD_1 src1_sel:DWORD
	v_add_f16_e32 v43, v45, v43
	v_fma_f16 v45, v27, s11, v67
	v_lshrrev_b32_e32 v130, 16, v27
	v_mul_f16_e32 v73, 0xba62, v26
	s_movk_i32 s34, 0x31e1
	v_add_f16_e32 v22, v45, v22
	v_fma_f16 v45, v130, s23, -v73
	v_mul_f16_sdwa v78, v26, s34 dst_sel:DWORD dst_unused:UNUSED_PAD src0_sel:WORD_1 src1_sel:DWORD
	v_add_f16_e32 v23, v45, v23
	v_fma_f16 v45, v27, s17, v78
	v_mul_f16_e32 v83, 0x31e1, v26
	v_add_f16_e32 v24, v45, v24
	v_fma_f16 v45, v130, s17, -v83
	v_mul_f16_e32 v93, 0x3bb2, v26
	v_add_f16_e32 v35, v45, v35
	v_fma_f16 v45, v130, s15, -v93
	v_mul_f16_e32 v108, 0x3964, v26
	v_add_f16_e32 v40, v45, v40
	v_fma_f16 v45, v130, s10, -v108
	v_mul_f16_sdwa v70, v28, s25 dst_sel:DWORD dst_unused:UNUSED_PAD src0_sel:WORD_1 src1_sel:DWORD
	v_add_f16_e32 v43, v45, v43
	v_fma_f16 v45, v29, s14, v70
	v_lshrrev_b32_e32 v131, 16, v29
	v_mul_f16_e32 v77, 0xb1e1, v28
	v_add_f16_e32 v22, v45, v22
	v_fma_f16 v45, v131, s17, -v77
	v_mul_f16_sdwa v82, v28, s27 dst_sel:DWORD dst_unused:UNUSED_PAD src0_sel:WORD_1 src1_sel:DWORD
	v_add_f16_e32 v23, v45, v23
	v_fma_f16 v45, v29, s15, v82
	v_mul_f16_e32 v89, 0x3bb2, v28
	v_add_f16_e32 v24, v45, v24
	v_fma_f16 v45, v131, s15, -v89
	v_mul_f16_e32 v98, 0x35c8, v28
	v_add_f16_e32 v35, v45, v35
	v_fma_f16 v45, v131, s2, -v98
	v_mul_f16_e32 v112, 0xbb29, v28
	v_add_f16_e32 v40, v45, v40
	v_fma_f16 v45, v131, s11, -v112
	v_mul_f16_sdwa v74, v30, s3 dst_sel:DWORD dst_unused:UNUSED_PAD src0_sel:WORD_1 src1_sel:DWORD
	v_add_f16_e32 v43, v45, v43
	v_fma_f16 v45, v32, s15, v74
	v_lshrrev_b32_e32 v133, 16, v32
	v_mul_f16_e32 v81, 0x3836, v30
	;; [unrolled: 19-line block ×4, first 2 shown]
	v_add_f16_e32 v22, v45, v22
	v_fma_f16 v45, v135, s11, -v90
	v_mul_f16_sdwa v94, v39, s25 dst_sel:DWORD dst_unused:UNUSED_PAD src0_sel:WORD_1 src1_sel:DWORD
	v_add_f16_e32 v45, v45, v23
	v_fma_f16 v23, v48, s14, v94
	v_mul_f16_e32 v105, 0xbbf7, v39
	v_add_f16_e32 v23, v23, v24
	v_fma_f16 v24, v135, s14, -v105
	v_mul_f16_e32 v123, 0x3a62, v39
	v_add_f16_e32 v35, v24, v35
	v_fma_f16 v24, v135, s23, -v123
	;; [unrolled: 3-line block ×3, first 2 shown]
	v_lshrrev_b32_e32 v136, 16, v53
	v_mul_f16_e32 v126, 0xb836, v46
	v_add_f16_e32 v110, v24, v43
	v_fma_f16 v43, v136, s18, -v126
	v_mul_f16_e32 v129, 0x3964, v46
	v_mul_f16_sdwa v114, v46, s22 dst_sel:DWORD dst_unused:UNUSED_PAD src0_sel:WORD_1 src1_sel:DWORD
	v_add_f16_e32 v43, v43, v35
	v_fma_f16 v35, v136, s10, -v129
	v_mul_f16_e32 v132, 0xba62, v46
	s_mov_b32 s0, 0x3b7639e9
	v_fma_f16 v40, v53, s18, v114
	v_mul_f16_e32 v113, 0x35c8, v46
	v_add_f16_e32 v50, v35, v47
	v_fma_f16 v35, v136, s23, -v132
	s_mov_b32 s1, 0xb964b5c8
	s_mov_b32 s8, 0xbbf7b964
	v_pk_mul_f16 v115, v19, s0
	v_add_f16_e32 v23, v40, v23
	v_fma_f16 v40, v136, s2, -v113
	v_add_f16_e32 v35, v35, v110
	v_mul_f16_sdwa v110, v46, s16 dst_sel:DWORD dst_unused:UNUSED_PAD src0_sel:WORD_1 src1_sel:DWORD
	s_mov_b32 s30, 0x2de839e9
	s_mov_b32 s9, 0x3722b8d2
	v_pk_fma_f16 v99, v16, s1, v115 op_sel:[0,0,1] op_sel_hi:[1,1,0]
	v_pk_mul_f16 v116, v25, s8
	v_add_f16_e32 v40, v40, v45
	v_pk_fma_f16 v115, v16, s1, v115 op_sel:[0,0,1] op_sel_hi:[1,1,0] neg_lo:[1,0,0] neg_hi:[1,0,0]
	v_fma_f16 v45, v53, s17, v110
	s_mov_b32 s35, 0xba62bb29
	s_mov_b32 s36, 0x2de8bbdd
	v_pk_fma_f16 v100, v21, s30, v116
	v_add_f16_sdwa v24, v99, v0 dst_sel:DWORD dst_unused:UNUSED_PAD src0_sel:WORD_1 src1_sel:DWORD
	v_pk_mul_f16 v117, v27, s9
	v_pk_fma_f16 v116, v21, s30, v116 neg_lo:[0,0,1] neg_hi:[0,0,1]
	v_add_f16_e32 v22, v45, v22
	v_add_f16_sdwa v45, v115, v0 dst_sel:DWORD dst_unused:UNUSED_PAD src0_sel:DWORD src1_sel:WORD_1
	s_mov_b32 s37, 0xb1e1bbf7
	s_mov_b32 s38, 0xb461bacd
	v_add_f16_sdwa v24, v100, v24 dst_sel:DWORD dst_unused:UNUSED_PAD src0_sel:WORD_1 src1_sel:DWORD
	v_pk_fma_f16 v101, v26, s35, v117 op_sel:[0,0,1] op_sel_hi:[1,1,0]
	v_pk_mul_f16 v118, v29, s36
	v_pk_fma_f16 v117, v26, s35, v117 op_sel:[0,0,1] op_sel_hi:[1,1,0] neg_lo:[1,0,0] neg_hi:[1,0,0]
	v_add_f16_e32 v45, v116, v45
	s_mov_b32 s39, 0x3836bbb2
	s_mov_b32 s40, 0xb8d2b461
	v_add_f16_sdwa v24, v101, v24 dst_sel:DWORD dst_unused:UNUSED_PAD src0_sel:WORD_1 src1_sel:DWORD
	v_pk_fma_f16 v102, v28, s37, v118 op_sel:[0,0,1] op_sel_hi:[1,1,0]
	v_pk_mul_f16 v119, v32, s38
	v_pk_fma_f16 v118, v28, s37, v118 op_sel:[0,0,1] op_sel_hi:[1,1,0] neg_lo:[1,0,0] neg_hi:[1,0,0]
	v_add_f16_e32 v45, v117, v45
	s_mov_b32 s41, 0x3bb2ba62
	s_mov_b32 s42, 0xbacd3722
	v_add_f16_sdwa v24, v102, v24 dst_sel:DWORD dst_unused:UNUSED_PAD src0_sel:WORD_1 src1_sel:DWORD
	v_pk_fma_f16 v103, v30, s39, v119 op_sel:[0,0,1] op_sel_hi:[1,1,0]
	v_pk_mul_f16 v120, v36, s40
	s_load_dwordx2 s[8:9], s[4:5], 0x20
	s_nop 0
	s_load_dwordx2 s[4:5], s[4:5], 0x8
	v_pk_fma_f16 v119, v30, s39, v119 op_sel:[0,0,1] op_sel_hi:[1,1,0] neg_lo:[1,0,0] neg_hi:[1,0,0]
	v_add_f16_e32 v45, v118, v45
	s_mov_b32 s43, 0x3b29b836
	s_mov_b32 s44, 0xbbdd3b76
	v_add_f16_sdwa v24, v103, v24 dst_sel:DWORD dst_unused:UNUSED_PAD src0_sel:WORD_1 src1_sel:DWORD
	v_pk_fma_f16 v104, v33, s41, v120 op_sel:[0,0,1] op_sel_hi:[1,1,0]
	v_pk_mul_f16 v121, v48, s42
	v_pk_fma_f16 v120, v33, s41, v120 op_sel:[0,0,1] op_sel_hi:[1,1,0] neg_lo:[1,0,0] neg_hi:[1,0,0]
	v_add_f16_e32 v45, v119, v45
	s_mov_b32 s45, 0x35c8b1e1
	v_add_f16_sdwa v24, v104, v24 dst_sel:DWORD dst_unused:UNUSED_PAD src0_sel:WORD_1 src1_sel:DWORD
	v_pk_fma_f16 v107, v39, s43, v121 op_sel:[0,0,1] op_sel_hi:[1,1,0]
	v_pk_mul_f16 v122, v53, s44
	v_pk_fma_f16 v121, v39, s43, v121 op_sel:[0,0,1] op_sel_hi:[1,1,0] neg_lo:[1,0,0] neg_hi:[1,0,0]
	v_add_f16_e32 v45, v120, v45
	v_add_f16_sdwa v24, v107, v24 dst_sel:DWORD dst_unused:UNUSED_PAD src0_sel:WORD_1 src1_sel:DWORD
	v_pk_fma_f16 v109, v46, s45, v122 op_sel:[0,0,1] op_sel_hi:[1,1,0]
	v_pk_fma_f16 v122, v46, s45, v122 op_sel:[0,0,1] op_sel_hi:[1,1,0] neg_lo:[1,0,0] neg_hi:[1,0,0]
	v_add_f16_e32 v45, v121, v45
	v_add_f16_sdwa v24, v109, v24 dst_sel:DWORD dst_unused:UNUSED_PAD src0_sel:WORD_1 src1_sel:DWORD
	s_movk_i32 s30, 0x3b29
	v_add_f16_e32 v47, v122, v45
	v_mul_lo_u16_e32 v41, 17, v233
	s_waitcnt lgkmcnt(0)
	s_barrier
	s_and_saveexec_b64 s[0:1], vcc
	s_cbranch_execz .LBB0_7
; %bb.6:
	v_mul_f16_e32 v202, 0xb8d2, v128
	v_fma_f16 v203, v16, s31, v202
	v_mul_f16_e32 v204, 0xb461, v21
	v_add_f16_sdwa v203, v203, v0 dst_sel:DWORD dst_unused:UNUSED_PAD src0_sel:DWORD src1_sel:WORD_1
	v_fma_f16 v205, v25, s3, v204
	v_add_f16_e32 v203, v205, v203
	v_mul_f16_e32 v205, 0x3b76, v130
	v_fma_f16 v206, v26, s20, v205
	v_add_f16_e32 v203, v206, v203
	v_mul_f16_e32 v206, 0xbacd, v131
	;; [unrolled: 3-line block ×6, first 2 shown]
	v_fma_f16 v211, v46, s26, v210
	v_add_f16_e32 v203, v211, v203
	v_mul_f16_sdwa v211, v16, s24 dst_sel:DWORD dst_unused:UNUSED_PAD src0_sel:WORD_1 src1_sel:DWORD
	v_fma_f16 v212, v19, s23, v211
	v_mul_f16_sdwa v213, v25, s27 dst_sel:DWORD dst_unused:UNUSED_PAD src0_sel:WORD_1 src1_sel:DWORD
	v_add_f16_e32 v212, v212, v0
	v_fma_f16 v214, v52, s15, v213
	v_add_f16_e32 v212, v214, v212
	v_mul_f16_sdwa v214, v26, s29 dst_sel:DWORD dst_unused:UNUSED_PAD src0_sel:WORD_1 src1_sel:DWORD
	v_fma_f16 v215, v27, s2, v214
	v_add_f16_e32 v212, v215, v212
	v_mul_f16_sdwa v215, v28, s22 dst_sel:DWORD dst_unused:UNUSED_PAD src0_sel:WORD_1 src1_sel:DWORD
	;; [unrolled: 3-line block ×5, first 2 shown]
	v_fma_f16 v219, v48, s17, v218
	v_mul_f16_e32 v142, 0x2de8, v19
	v_add_f16_e32 v212, v219, v212
	v_mul_f16_sdwa v219, v46, s30 dst_sel:DWORD dst_unused:UNUSED_PAD src0_sel:WORD_1 src1_sel:DWORD
	v_mul_f16_e32 v139, 0x39e9, v128
	v_mul_f16_e32 v141, 0x3722, v128
	v_mul_f16_e32 v143, 0x2de8, v128
	v_mul_f16_e32 v145, 0xb461, v128
	v_mul_f16_e32 v150, 0xbbdd, v52
	v_fma_f16 v220, v53, s11, v219
	v_mul_f16_e32 v128, 0xbacd, v128
	v_sub_f16_e32 v34, v142, v34
	v_mul_f16_e32 v158, 0xb461, v27
	v_add_f16_e32 v212, v220, v212
	v_fma_f16 v220, v16, s28, v128
	v_mul_f16_e32 v221, 0x3722, v21
	v_add_f16_e32 v34, v34, v0
	v_sub_f16_e32 v37, v150, v37
	v_mul_f16_e32 v155, 0xb8d2, v130
	v_mul_f16_e32 v157, 0xbbdd, v130
	;; [unrolled: 1-line block ×5, first 2 shown]
	v_add_f16_sdwa v220, v220, v0 dst_sel:DWORD dst_unused:UNUSED_PAD src0_sel:DWORD src1_sel:WORD_1
	v_fma_f16 v222, v25, s26, v221
	v_mul_f16_e32 v130, 0x2de8, v130
	v_add_f16_e32 v34, v37, v34
	v_sub_f16_e32 v37, v158, v49
	v_mul_f16_e32 v163, 0xbbdd, v131
	v_mul_f16_e32 v165, 0xb461, v131
	v_mul_f16_e32 v167, 0x3b76, v131
	v_mul_f16_e32 v169, 0x3722, v131
	v_mul_f16_e32 v174, 0x3722, v32
	v_add_f16_e32 v220, v222, v220
	v_fma_f16 v222, v26, s21, v130
	v_mul_f16_e32 v131, 0xb8d2, v131
	v_add_f16_e32 v34, v37, v34
	v_sub_f16_e32 v37, v166, v54
	v_mul_f16_e32 v171, 0xbacd, v133
	v_mul_f16_e32 v173, 0x39e9, v133
	v_mul_f16_e32 v175, 0x3722, v133
	v_mul_f16_e32 v177, 0xbbdd, v133
	v_mul_f16_e32 v182, 0xbacd, v36
	v_add_f16_e32 v220, v222, v220
	;; [unrolled: 10-line block ×4, first 2 shown]
	v_fma_f16 v222, v33, s34, v134
	v_mul_f16_e32 v135, 0x39e9, v135
	v_add_f16_e32 v34, v37, v34
	v_sub_f16_e32 v37, v190, v62
	v_mul_f16_e32 v195, 0x3b76, v136
	v_mul_f16_e32 v197, 0xbacd, v136
	;; [unrolled: 1-line block ×4, first 2 shown]
	v_add_f16_e32 v220, v222, v220
	v_fma_f16 v222, v39, s33, v135
	v_mul_f16_e32 v136, 0xb461, v136
	v_add_f16_e32 v34, v37, v34
	v_sub_f16_e32 v37, v198, v69
	v_mul_f16_e32 v144, 0xb461, v19
	v_mul_f16_e32 v149, 0xb8d2, v21
	v_add_f16_e32 v220, v222, v220
	v_fma_f16 v222, v46, s27, v136
	v_fma_f16 v128, v16, s22, v128
	v_add_f16_e32 v34, v37, v34
	v_add_f16_e32 v37, v75, v141
	v_mul_f16_e32 v152, 0xbacd, v52
	v_add_f16_e32 v220, v222, v220
	v_mul_f16_sdwa v222, v16, s22 dst_sel:DWORD dst_unused:UNUSED_PAD src0_sel:WORD_1 src1_sel:DWORD
	v_add_f16_sdwa v128, v128, v0 dst_sel:DWORD dst_unused:UNUSED_PAD src0_sel:DWORD src1_sel:WORD_1
	v_fma_f16 v221, v25, s30, v221
	v_sub_f16_e32 v38, v144, v38
	v_add_f16_sdwa v37, v37, v0 dst_sel:DWORD dst_unused:UNUSED_PAD src0_sel:DWORD src1_sel:WORD_1
	v_add_f16_e32 v49, v76, v149
	v_mul_f16_e32 v160, 0x39e9, v27
	v_fma_f16 v223, v19, s18, v222
	v_mul_f16_sdwa v224, v25, s30 dst_sel:DWORD dst_unused:UNUSED_PAD src0_sel:WORD_1 src1_sel:DWORD
	v_add_f16_e32 v128, v221, v128
	v_fma_f16 v130, v26, s25, v130
	v_add_f16_e32 v38, v38, v0
	v_sub_f16_e32 v51, v152, v51
	v_add_f16_e32 v37, v49, v37
	v_add_f16_e32 v49, v83, v157
	v_mul_f16_e32 v168, 0x3722, v29
	v_add_f16_e32 v223, v223, v0
	v_fma_f16 v225, v52, s11, v224
	v_add_f16_e32 v128, v130, v128
	v_fma_f16 v130, v28, s31, v131
	v_add_f16_e32 v38, v51, v38
	v_sub_f16_e32 v51, v160, v55
	v_add_f16_e32 v37, v49, v37
	v_add_f16_e32 v49, v89, v165
	v_mul_f16_e32 v176, 0xbbdd, v32
	v_add_f16_e32 v223, v225, v223
	v_mul_f16_sdwa v225, v26, s25 dst_sel:DWORD dst_unused:UNUSED_PAD src0_sel:WORD_1 src1_sel:DWORD
	v_add_f16_e32 v128, v130, v128
	v_fma_f16 v130, v30, s29, v133
	v_add_f16_e32 v38, v51, v38
	v_sub_f16_e32 v51, v168, v57
	v_add_f16_e32 v37, v49, v37
	v_add_f16_e32 v49, v92, v173
	v_mul_f16_e32 v184, 0x2de8, v36
	v_fma_f16 v226, v27, s14, v225
	v_add_f16_e32 v128, v130, v128
	v_fma_f16 v130, v33, s16, v134
	v_add_f16_e32 v38, v51, v38
	v_sub_f16_e32 v51, v176, v59
	v_add_f16_e32 v37, v49, v37
	v_add_f16_e32 v49, v96, v181
	v_mul_f16_e32 v192, 0x3b76, v48
	v_add_f16_e32 v223, v226, v223
	v_mul_f16_sdwa v226, v28, s31 dst_sel:DWORD dst_unused:UNUSED_PAD src0_sel:WORD_1 src1_sel:DWORD
	v_add_f16_e32 v128, v130, v128
	v_fma_f16 v130, v39, s19, v135
	v_add_f16_e32 v38, v51, v38
	v_sub_f16_e32 v51, v184, v64
	v_add_f16_e32 v37, v49, v37
	v_add_f16_e32 v49, v105, v189
	v_mul_f16_e32 v140, 0x3722, v19
	v_mul_f16_e32 v200, 0xb8d2, v53
	v_fma_f16 v227, v29, s23, v226
	v_add_f16_e32 v128, v130, v128
	v_fma_f16 v130, v46, s3, v136
	v_add_f16_e32 v38, v51, v38
	v_sub_f16_e32 v51, v192, v68
	v_add_f16_e32 v37, v49, v37
	v_add_f16_e32 v49, v126, v197
	v_mul_f16_e32 v148, 0xb8d2, v52
	v_add_f16_e32 v223, v227, v223
	v_mul_f16_sdwa v227, v30, s29 dst_sel:DWORD dst_unused:UNUSED_PAD src0_sel:WORD_1 src1_sel:DWORD
	v_add_f16_e32 v128, v130, v128
	v_fma_f16 v130, v19, s18, -v222
	v_add_f16_e32 v38, v51, v38
	v_sub_f16_e32 v51, v200, v80
	v_add_f16_e32 v37, v49, v37
	v_sub_f16_e32 v49, v140, v71
	v_mul_f16_e32 v151, 0xbbdd, v21
	v_mul_f16_e32 v156, 0xbbdd, v27
	v_fma_f16 v228, v32, s2, v227
	v_add_f16_e32 v130, v130, v0
	v_fma_f16 v131, v52, s11, -v224
	v_add_f16_e32 v38, v51, v38
	v_add_f16_e32 v51, v85, v143
	;; [unrolled: 1-line block ×3, first 2 shown]
	v_sub_f16_e32 v54, v148, v72
	v_mul_f16_e32 v164, 0xb461, v29
	v_add_f16_e32 v223, v228, v223
	v_mul_f16_sdwa v228, v33, s16 dst_sel:DWORD dst_unused:UNUSED_PAD src0_sel:WORD_1 src1_sel:DWORD
	v_add_f16_e32 v130, v131, v130
	v_fma_f16 v131, v27, s14, -v225
	v_add_f16_sdwa v51, v51, v0 dst_sel:DWORD dst_unused:UNUSED_PAD src0_sel:DWORD src1_sel:WORD_1
	v_add_f16_e32 v55, v87, v151
	v_add_f16_e32 v49, v54, v49
	v_sub_f16_e32 v54, v156, v78
	v_mul_f16_e32 v172, 0x39e9, v32
	v_fma_f16 v229, v36, s17, v228
	v_add_f16_e32 v130, v131, v130
	v_fma_f16 v131, v29, s23, -v226
	v_add_f16_e32 v51, v55, v51
	v_add_f16_e32 v55, v93, v159
	;; [unrolled: 1-line block ×3, first 2 shown]
	v_sub_f16_e32 v54, v164, v82
	v_mul_f16_e32 v180, 0x3b76, v36
	v_add_f16_e32 v223, v229, v223
	v_mul_f16_sdwa v229, v39, s19 dst_sel:DWORD dst_unused:UNUSED_PAD src0_sel:WORD_1 src1_sel:DWORD
	v_add_f16_e32 v130, v131, v130
	v_fma_f16 v131, v32, s2, -v227
	v_add_f16_e32 v51, v55, v51
	v_add_f16_e32 v55, v98, v167
	;; [unrolled: 1-line block ×3, first 2 shown]
	v_sub_f16_e32 v54, v172, v88
	v_alignbit_b32 v137, v0, v0, 16
	v_mul_f16_e32 v188, 0x2de8, v48
	v_fma_f16 v230, v48, s10, v229
	v_add_f16_e32 v130, v131, v130
	v_fma_f16 v131, v36, s17, -v228
	v_add_f16_e32 v51, v55, v51
	v_add_f16_e32 v55, v106, v175
	;; [unrolled: 1-line block ×3, first 2 shown]
	v_sub_f16_e32 v54, v180, v91
	v_alignbit_b32 v60, v60, v60, 16
	v_mul_f16_e32 v196, 0xbacd, v53
	v_add_f16_e32 v223, v230, v223
	v_mul_f16_sdwa v230, v46, s3 dst_sel:DWORD dst_unused:UNUSED_PAD src0_sel:WORD_1 src1_sel:DWORD
	v_add_f16_e32 v130, v131, v130
	v_fma_f16 v131, v48, s10, -v229
	v_add_f16_e32 v51, v55, v51
	v_add_f16_e32 v55, v111, v183
	;; [unrolled: 1-line block ×3, first 2 shown]
	v_sub_f16_e32 v54, v188, v94
	v_pk_add_f16 v1, v1, v137 op_sel:[0,1] op_sel_hi:[1,0]
	v_add_f16_e32 v130, v131, v130
	v_fma_f16 v131, v53, s15, -v230
	v_add_f16_e32 v51, v55, v51
	v_add_f16_e32 v55, v123, v191
	;; [unrolled: 1-line block ×3, first 2 shown]
	v_sub_f16_e32 v54, v196, v114
	v_pk_add_f16 v1, v60, v1
	v_mul_f16_e32 v147, 0x2de8, v21
	v_add_f16_e32 v130, v131, v130
	v_fma_f16 v131, v16, s24, v202
	v_add_f16_e32 v51, v55, v51
	v_add_f16_e32 v55, v129, v199
	;; [unrolled: 1-line block ×4, first 2 shown]
	v_pk_add_f16 v1, v17, v1
	v_add_f16_sdwa v131, v131, v0 dst_sel:DWORD dst_unused:UNUSED_PAD src0_sel:DWORD src1_sel:WORD_1
	v_fma_f16 v133, v25, s27, v204
	v_add_f16_e32 v51, v55, v51
	v_add_f16_sdwa v54, v54, v0 dst_sel:DWORD dst_unused:UNUSED_PAD src0_sel:DWORD src1_sel:WORD_1
	v_add_f16_e32 v55, v66, v147
	v_pk_add_f16 v1, v14, v1
	v_add_f16_e32 v131, v133, v131
	v_fma_f16 v133, v26, s29, v205
	v_add_f16_e32 v54, v55, v54
	v_add_f16_e32 v55, v73, v155
	v_pk_add_f16 v1, v15, v1
	v_add_f16_e32 v131, v133, v131
	v_fma_f16 v133, v28, s22, v206
	v_add_f16_e32 v54, v55, v54
	;; [unrolled: 5-line block ×5, first 2 shown]
	v_add_f16_e32 v55, v90, v187
	v_pk_add_f16 v1, v9, v1
	v_mul_f16_e32 v138, 0x3b76, v19
	v_add_f16_e32 v131, v133, v131
	v_fma_f16 v133, v46, s30, v210
	v_add_f16_e32 v54, v55, v54
	v_add_f16_e32 v55, v113, v195
	s_mov_b32 s25, 0xffff
	v_pk_add_f16 v1, v10, v1
	v_mul_f16_e32 v146, 0x39e9, v52
	v_add_f16_e32 v131, v133, v131
	v_fma_f16 v133, v19, s23, -v211
	v_add_f16_e32 v95, v95, v145
	v_add_f16_e32 v54, v55, v54
	v_bfi_b32 v55, s25, v99, v115
	v_sub_f16_e32 v61, v138, v61
	v_pk_add_f16 v1, v11, v1
	v_mul_f16_e32 v154, 0x3722, v27
	v_add_f16_e32 v133, v133, v0
	v_add_f16_sdwa v95, v95, v0 dst_sel:DWORD dst_unused:UNUSED_PAD src0_sel:DWORD src1_sel:WORD_1
	v_bfi_b32 v56, s25, v100, v116
	v_add_f16_e32 v0, v61, v0
	v_sub_f16_e32 v61, v146, v63
	v_pk_add_f16 v1, v4, v1
	v_pk_add_f16 v4, v55, v137
	v_mul_f16_e32 v153, 0xbacd, v21
	v_mul_f16_e32 v162, 0x2de8, v29
	v_bfi_b32 v57, s25, v101, v117
	v_add_f16_e32 v0, v61, v0
	v_sub_f16_e32 v61, v154, v67
	v_pk_add_f16 v4, v56, v4
	v_mul_f16_e32 v170, 0xb461, v32
	v_fma_f16 v52, v52, s15, -v213
	v_add_f16_e32 v97, v97, v153
	v_bfi_b32 v58, s25, v102, v118
	v_add_f16_e32 v0, v61, v0
	v_sub_f16_e32 v61, v162, v70
	v_pk_add_f16 v4, v57, v4
	v_mul_f16_e32 v178, 0xb8d2, v36
	v_add_f16_e32 v52, v52, v133
	v_fma_f16 v133, v27, s2, -v214
	v_add_f16_e32 v95, v97, v95
	v_add_f16_e32 v97, v108, v161
	v_bfi_b32 v59, s25, v103, v119
	v_add_f16_e32 v0, v61, v0
	v_sub_f16_e32 v61, v170, v74
	v_pk_add_f16 v4, v58, v4
	v_mul_f16_e32 v186, 0xbacd, v48
	v_add_f16_e32 v52, v133, v52
	v_fma_f16 v133, v29, s18, -v215
	v_add_f16_e32 v95, v97, v95
	;; [unrolled: 9-line block ×3, first 2 shown]
	v_add_f16_e32 v97, v124, v177
	v_bfi_b32 v64, s25, v107, v121
	v_add_f16_e32 v0, v61, v0
	v_sub_f16_e32 v61, v186, v84
	v_pk_add_f16 v4, v62, v4
	v_add_f16_e32 v52, v133, v52
	v_fma_f16 v133, v36, s10, -v217
	v_add_f16_e32 v95, v97, v95
	v_add_f16_e32 v97, v125, v185
	v_bfi_b32 v65, s25, v109, v122
	v_add_f16_e32 v0, v61, v0
	v_sub_f16_e32 v61, v194, v110
	v_pk_add_f16 v4, v64, v4
	v_add_f16_e32 v52, v133, v52
	v_fma_f16 v133, v48, s17, -v218
	v_add_f16_e32 v95, v97, v95
	v_add_f16_e32 v97, v127, v193
	;; [unrolled: 1-line block ×3, first 2 shown]
	v_pk_add_f16 v4, v65, v4
	v_add_f16_e32 v52, v133, v52
	v_fma_f16 v133, v53, s11, -v219
	v_add_f16_e32 v95, v97, v95
	v_add_f16_e32 v97, v132, v201
	v_add_lshl_u32 v14, v31, v41, 2
	v_pk_add_f16 v1, v5, v1
	v_alignbit_b32 v5, v54, v4, 16
	v_pack_b32_f16 v0, v0, v4
	v_add_f16_e32 v52, v133, v52
	v_add_f16_e32 v95, v97, v95
	v_pk_add_f16 v1, v6, v1
	ds_write2_b32 v14, v0, v5 offset0:1 offset1:2
	v_pack_b32_f16 v0, v34, v51
	v_pack_b32_f16 v4, v49, v37
	v_pk_add_f16 v1, v7, v1
	ds_write2_b32 v14, v4, v0 offset0:3 offset1:4
	v_pack_b32_f16 v0, v38, v95
	v_pack_b32_f16 v4, v52, v131
	v_pk_add_f16 v1, v18, v1
	ds_write2_b32 v14, v0, v4 offset0:5 offset1:6
	v_pack_b32_f16 v0, v130, v128
	ds_write2_b32 v14, v1, v0 offset1:7
	v_pk_mul_f16 v0, v19, s17 op_sel_hi:[1,0]
	v_pk_fma_f16 v1, v16, s16, v0 op_sel:[0,0,1] op_sel_hi:[1,0,0] neg_lo:[1,0,0] neg_hi:[1,0,0]
	v_pk_mul_f16 v4, v25, s20 op_sel_hi:[1,0]
	v_pk_add_f16 v1, v1, v137
	v_pk_fma_f16 v5, v21, s2, v4 op_sel_hi:[1,0,1] neg_lo:[0,0,1] neg_hi:[0,0,1]
	v_pk_add_f16 v1, v5, v1
	v_pk_mul_f16 v5, v27, s18 op_sel_hi:[1,0]
	v_pk_fma_f16 v6, v26, s22, v5 op_sel:[0,0,1] op_sel_hi:[1,0,0] neg_lo:[1,0,0] neg_hi:[1,0,0]
	v_pk_add_f16 v1, v6, v1
	v_pk_mul_f16 v6, v29, s10 op_sel_hi:[1,0]
	v_pk_fma_f16 v7, v28, s19, v6 op_sel:[0,0,1] op_sel_hi:[1,0,0] neg_lo:[1,0,0] neg_hi:[1,0,0]
	v_pk_add_f16 v1, v7, v1
	v_pk_mul_f16 v7, v32, s23 op_sel_hi:[1,0]
	v_pk_fma_f16 v0, v16, s16, v0 op_sel:[0,0,1] op_sel_hi:[1,0,0]
	v_pk_fma_f16 v8, v30, s24, v7 op_sel:[0,0,1] op_sel_hi:[1,0,0] neg_lo:[1,0,0] neg_hi:[1,0,0]
	v_pk_add_f16 v0, v0, v137
	v_pk_fma_f16 v4, v21, s2, v4 op_sel_hi:[1,0,1]
	v_pk_add_f16 v1, v8, v1
	v_pk_mul_f16 v8, v36, s11 op_sel_hi:[1,0]
	v_pk_add_f16 v0, v4, v0
	v_pk_fma_f16 v4, v26, s22, v5 op_sel:[0,0,1] op_sel_hi:[1,0,0]
	v_pk_fma_f16 v9, v33, s30, v8 op_sel:[0,0,1] op_sel_hi:[1,0,0] neg_lo:[1,0,0] neg_hi:[1,0,0]
	v_pk_add_f16 v0, v4, v0
	v_pk_fma_f16 v4, v28, s19, v6 op_sel:[0,0,1] op_sel_hi:[1,0,0]
	v_pk_add_f16 v1, v9, v1
	v_pk_mul_f16 v9, v48, s15 op_sel_hi:[1,0]
	v_pk_add_f16 v0, v4, v0
	v_pk_fma_f16 v4, v30, s24, v7 op_sel:[0,0,1] op_sel_hi:[1,0,0]
	v_pk_fma_f16 v10, v39, s3, v9 op_sel:[0,0,1] op_sel_hi:[1,0,0] neg_lo:[1,0,0] neg_hi:[1,0,0]
	v_pk_add_f16 v0, v4, v0
	v_pk_fma_f16 v4, v33, s30, v8 op_sel:[0,0,1] op_sel_hi:[1,0,0]
	;; [unrolled: 7-line block ×3, first 2 shown]
	v_fma_f16 v231, v53, s15, v230
	v_pk_add_f16 v1, v11, v1
	v_pk_add_f16 v0, v4, v0
	v_add_f16_e32 v223, v231, v223
	v_alignbit_b32 v4, v1, v0, 16
	v_alignbit_b32 v0, v0, v1, 16
	ds_write2_b32 v14, v0, v4 offset0:8 offset1:9
	v_pack_b32_f16 v0, v212, v203
	v_pack_b32_f16 v1, v223, v220
	s_mov_b32 s2, 0x5040100
	ds_write2_b32 v14, v1, v0 offset0:10 offset1:11
	v_perm_b32 v0, v50, v3, s2
	v_perm_b32 v1, v35, v2, s2
	ds_write2_b32 v14, v1, v0 offset0:12 offset1:13
	v_perm_b32 v0, v40, v24, s2
	v_perm_b32 v1, v43, v23, s2
	ds_write2_b32 v14, v1, v0 offset0:14 offset1:15
	v_perm_b32 v0, v47, v22, s2
	ds_write_b32 v14, v0 offset:64
.LBB0_7:
	s_or_b64 exec, exec, s[0:1]
	v_add_lshl_u32 v46, v31, v233, 2
	v_add_u32_e32 v6, 0x600, v46
	v_add_u32_e32 v8, 0x400, v46
	s_waitcnt lgkmcnt(0)
	s_barrier
	ds_read2_b32 v[4:5], v46 offset1:68
	ds_read2_b32 v[0:1], v46 offset0:136 offset1:238
	ds_read2_b32 v[25:26], v6 offset0:92 offset1:160
	v_add_u32_e32 v6, 0x800, v46
	ds_read2_b32 v[27:28], v8 offset0:50 offset1:118
	v_add_u32_e32 v8, 0xc00, v46
	ds_read2_b32 v[6:7], v6 offset0:100 offset1:202
	ds_read2_b32 v[29:30], v8 offset0:14 offset1:82
	v_cmp_gt_u16_e64 s[0:1], 34, v233
	s_and_saveexec_b64 s[2:3], s[0:1]
	s_cbranch_execz .LBB0_9
; %bb.8:
	v_add_u32_e32 v2, 0x300, v46
	v_add_u32_e32 v8, 0xa80, v46
	ds_read2_b32 v[2:3], v2 offset0:12 offset1:250
	ds_read2_b32 v[23:24], v8 offset0:8 offset1:246
	s_waitcnt lgkmcnt(1)
	v_lshrrev_b32_e32 v35, 16, v2
	v_lshrrev_b32_e32 v50, 16, v3
	s_waitcnt lgkmcnt(0)
	v_lshrrev_b32_e32 v43, 16, v23
	v_lshrrev_b32_e32 v40, 16, v24
.LBB0_9:
	s_or_b64 exec, exec, s[2:3]
	s_movk_i32 s10, 0xf1
	v_add_u16_e32 v10, 0x44, v233
	v_mul_lo_u16_sdwa v8, v233, s10 dst_sel:DWORD dst_unused:UNUSED_PAD src0_sel:BYTE_0 src1_sel:DWORD
	v_mul_lo_u16_sdwa v11, v10, s10 dst_sel:DWORD dst_unused:UNUSED_PAD src0_sel:BYTE_0 src1_sel:DWORD
	v_lshrrev_b16_e32 v36, 12, v8
	v_lshrrev_b16_e32 v38, 12, v11
	v_mul_lo_u16_e32 v8, 17, v36
	v_mul_lo_u16_e32 v11, 17, v38
	v_sub_u16_e32 v8, v233, v8
	v_sub_u16_e32 v10, v10, v11
	v_add_u16_e32 v32, 0x88, v233
	v_and_b32_e32 v37, 0xff, v8
	v_and_b32_e32 v39, 0xff, v10
	v_mul_lo_u16_sdwa v10, v32, s10 dst_sel:DWORD dst_unused:UNUSED_PAD src0_sel:BYTE_0 src1_sel:DWORD
	v_mad_u64_u32 v[8:9], s[2:3], v37, 12, s[4:5]
	v_lshrrev_b16_e32 v53, 12, v10
	v_mul_lo_u16_e32 v10, 17, v53
	v_sub_u16_e32 v10, v32, v10
	v_mad_u64_u32 v[33:34], s[2:3], v39, 12, s[4:5]
	v_and_b32_e32 v54, 0xff, v10
	global_load_dwordx3 v[17:19], v[8:9], off
	v_mad_u64_u32 v[8:9], s[2:3], v54, 12, s[4:5]
	global_load_dwordx3 v[14:16], v[33:34], off
	global_load_dwordx3 v[11:13], v[8:9], off
	v_add_u16_e32 v33, 0xcc, v233
	v_mul_u32_u24_e32 v34, 0xf0f1, v33
	v_lshrrev_b32_e32 v234, 20, v34
	v_mul_lo_u16_e32 v8, 17, v234
	v_sub_u16_e32 v235, v33, v8
	v_mul_lo_u16_e32 v8, 12, v235
	v_mov_b32_e32 v9, s5
	v_add_co_u32_e64 v8, s[2:3], s4, v8
	v_addc_co_u32_e64 v9, s[2:3], 0, v9, s[2:3]
	global_load_dwordx3 v[8:10], v[8:9], off
	s_waitcnt lgkmcnt(4)
	v_lshrrev_b32_e32 v51, 16, v1
	s_waitcnt lgkmcnt(3)
	v_lshrrev_b32_e32 v52, 16, v25
	;; [unrolled: 2-line block ×3, first 2 shown]
	v_lshrrev_b32_e32 v21, 16, v4
	v_lshrrev_b32_e32 v58, 16, v26
	;; [unrolled: 1-line block ×3, first 2 shown]
	s_waitcnt lgkmcnt(0)
	v_lshrrev_b32_e32 v59, 16, v29
	v_lshrrev_b32_e32 v56, 16, v5
	v_lshrrev_b32_e32 v62, 16, v6
	v_lshrrev_b32_e32 v61, 16, v28
	v_lshrrev_b32_e32 v63, 16, v30
	v_lshrrev_b32_e32 v60, 16, v0
	s_load_dwordx4 s[8:11], s[8:9], 0x0
	s_waitcnt vmcnt(0) lgkmcnt(0)
	s_barrier
	s_movk_i32 s15, 0x44
	s_mov_b32 s14, 0xf0f1
	v_mul_f16_sdwa v64, v51, v17 dst_sel:DWORD dst_unused:UNUSED_PAD src0_sel:DWORD src1_sel:WORD_1
	v_mul_f16_sdwa v65, v1, v17 dst_sel:DWORD dst_unused:UNUSED_PAD src0_sel:DWORD src1_sel:WORD_1
	v_fma_f16 v1, v1, v17, -v64
	v_mul_f16_sdwa v67, v25, v18 dst_sel:DWORD dst_unused:UNUSED_PAD src0_sel:DWORD src1_sel:WORD_1
	v_mul_f16_sdwa v69, v7, v19 dst_sel:DWORD dst_unused:UNUSED_PAD src0_sel:DWORD src1_sel:WORD_1
	;; [unrolled: 1-line block ×4, first 2 shown]
	v_fma_f16 v51, v51, v17, v65
	v_fma_f16 v52, v52, v18, v67
	;; [unrolled: 1-line block ×3, first 2 shown]
	v_fma_f16 v25, v25, v18, -v66
	v_fma_f16 v7, v7, v19, -v68
	v_mul_f16_sdwa v71, v27, v14 dst_sel:DWORD dst_unused:UNUSED_PAD src0_sel:DWORD src1_sel:WORD_1
	v_mul_f16_sdwa v72, v58, v15 dst_sel:DWORD dst_unused:UNUSED_PAD src0_sel:DWORD src1_sel:WORD_1
	;; [unrolled: 1-line block ×5, first 2 shown]
	v_fma_f16 v64, v3, v8, -v82
	v_mul_f16_sdwa v3, v3, v8 dst_sel:DWORD dst_unused:UNUSED_PAD src0_sel:DWORD src1_sel:WORD_1
	v_fma_f16 v50, v50, v8, v3
	v_mul_f16_sdwa v3, v43, v9 dst_sel:DWORD dst_unused:UNUSED_PAD src0_sel:DWORD src1_sel:WORD_1
	v_fma_f16 v3, v23, v9, -v3
	v_mul_f16_sdwa v23, v23, v9 dst_sel:DWORD dst_unused:UNUSED_PAD src0_sel:DWORD src1_sel:WORD_1
	v_fma_f16 v23, v43, v9, v23
	v_mul_f16_sdwa v43, v40, v10 dst_sel:DWORD dst_unused:UNUSED_PAD src0_sel:DWORD src1_sel:WORD_1
	v_fma_f16 v43, v24, v10, -v43
	v_mul_f16_sdwa v24, v24, v10 dst_sel:DWORD dst_unused:UNUSED_PAD src0_sel:DWORD src1_sel:WORD_1
	v_fma_f16 v24, v40, v10, v24
	v_sub_f16_e32 v40, v21, v52
	v_sub_f16_e32 v52, v51, v55
	;; [unrolled: 1-line block ×3, first 2 shown]
	v_fma_f16 v21, v21, 2.0, -v40
	v_sub_f16_e32 v7, v1, v7
	v_fma_f16 v51, v51, 2.0, -v52
	v_mul_f16_sdwa v70, v57, v14 dst_sel:DWORD dst_unused:UNUSED_PAD src0_sel:DWORD src1_sel:WORD_1
	v_mul_f16_sdwa v74, v59, v16 dst_sel:DWORD dst_unused:UNUSED_PAD src0_sel:DWORD src1_sel:WORD_1
	v_fma_f16 v57, v57, v14, v71
	v_fma_f16 v26, v26, v15, -v72
	v_fma_f16 v58, v58, v15, v73
	v_fma_f16 v59, v59, v16, v75
	v_fma_f16 v4, v4, 2.0, -v25
	v_fma_f16 v1, v1, 2.0, -v7
	v_sub_f16_e32 v67, v21, v51
	v_mul_f16_sdwa v77, v28, v11 dst_sel:DWORD dst_unused:UNUSED_PAD src0_sel:DWORD src1_sel:WORD_1
	v_mul_f16_sdwa v78, v62, v12 dst_sel:DWORD dst_unused:UNUSED_PAD src0_sel:DWORD src1_sel:WORD_1
	;; [unrolled: 1-line block ×4, first 2 shown]
	v_fma_f16 v27, v27, v14, -v70
	v_fma_f16 v29, v29, v16, -v74
	v_sub_f16_e32 v55, v4, v1
	v_fma_f16 v68, v21, 2.0, -v67
	v_sub_f16_e32 v1, v5, v26
	v_sub_f16_e32 v21, v56, v58
	;; [unrolled: 1-line block ×3, first 2 shown]
	v_mul_f16_sdwa v76, v61, v11 dst_sel:DWORD dst_unused:UNUSED_PAD src0_sel:DWORD src1_sel:WORD_1
	v_mul_f16_sdwa v80, v63, v13 dst_sel:DWORD dst_unused:UNUSED_PAD src0_sel:DWORD src1_sel:WORD_1
	v_fma_f16 v61, v61, v11, v77
	v_fma_f16 v6, v6, v12, -v78
	v_fma_f16 v62, v62, v12, v79
	v_fma_f16 v63, v63, v13, v81
	v_fma_f16 v26, v56, 2.0, -v21
	v_sub_f16_e32 v29, v27, v29
	v_fma_f16 v56, v57, 2.0, -v51
	v_sub_f16_e32 v57, v1, v51
	v_fma_f16 v5, v5, 2.0, -v1
	v_fma_f16 v27, v27, 2.0, -v29
	v_add_f16_e32 v29, v21, v29
	v_fma_f16 v58, v1, 2.0, -v57
	v_sub_f16_e32 v1, v0, v6
	v_sub_f16_e32 v6, v60, v62
	;; [unrolled: 1-line block ×3, first 2 shown]
	v_fma_f16 v59, v21, 2.0, -v29
	v_fma_f16 v21, v60, 2.0, -v6
	;; [unrolled: 1-line block ×3, first 2 shown]
	v_sub_f16_e32 v69, v1, v51
	v_fma_f16 v0, v0, 2.0, -v1
	v_sub_f16_e32 v60, v21, v60
	v_fma_f16 v70, v1, 2.0, -v69
	v_sub_f16_e32 v1, v35, v23
	v_sub_f16_e32 v23, v64, v43
	;; [unrolled: 1-line block ×3, first 2 shown]
	v_add_f16_e32 v7, v40, v7
	v_fma_f16 v63, v21, 2.0, -v60
	v_sub_f16_e32 v21, v50, v24
	v_fma_f16 v24, v64, 2.0, -v23
	v_add_f16_e32 v66, v1, v23
	v_mul_u32_u24_e32 v23, 0x44, v36
	v_fma_f16 v4, v4, 2.0, -v55
	v_fma_f16 v25, v25, 2.0, -v52
	;; [unrolled: 1-line block ×3, first 2 shown]
	v_add_u32_e32 v23, v23, v37
	v_add_lshl_u32 v190, v31, v23, 2
	v_pack_b32_f16 v4, v4, v68
	v_pack_b32_f16 v23, v25, v40
	ds_write2_b32 v190, v4, v23 offset1:17
	v_pack_b32_f16 v4, v55, v67
	v_pack_b32_f16 v7, v52, v7
	v_sub_f16_e32 v27, v5, v27
	v_sub_f16_e32 v56, v26, v56
	ds_write2_b32 v190, v4, v7 offset0:34 offset1:51
	v_mul_u32_u24_e32 v4, 0x44, v38
	v_fma_f16 v28, v28, v11, -v76
	v_fma_f16 v30, v30, v13, -v80
	v_fma_f16 v5, v5, 2.0, -v27
	v_fma_f16 v26, v26, 2.0, -v56
	v_add_u32_e32 v4, v4, v39
	v_sub_f16_e32 v30, v28, v30
	v_add_lshl_u32 v191, v31, v4, 2
	v_pack_b32_f16 v4, v5, v26
	v_pack_b32_f16 v5, v58, v59
	v_fma_f16 v28, v28, 2.0, -v30
	ds_write2_b32 v191, v4, v5 offset1:17
	v_pack_b32_f16 v4, v27, v56
	v_pack_b32_f16 v5, v57, v29
	v_sub_f16_e32 v61, v0, v28
	v_add_f16_e32 v30, v6, v30
	ds_write2_b32 v191, v4, v5 offset0:34 offset1:51
	v_mul_u32_u24_e32 v4, 0x44, v53
	v_fma_f16 v62, v0, 2.0, -v61
	v_fma_f16 v6, v6, 2.0, -v30
	v_sub_f16_e32 v0, v2, v3
	v_add_u32_e32 v4, v4, v54
	v_fma_f16 v2, v2, 2.0, -v0
	v_fma_f16 v3, v35, 2.0, -v1
	;; [unrolled: 1-line block ×3, first 2 shown]
	v_add_lshl_u32 v192, v31, v4, 2
	v_pack_b32_f16 v4, v62, v63
	v_pack_b32_f16 v5, v70, v6
	v_sub_f16_e32 v28, v2, v24
	v_sub_f16_e32 v65, v3, v35
	;; [unrolled: 1-line block ×3, first 2 shown]
	ds_write2_b32 v192, v4, v5 offset1:17
	v_pack_b32_f16 v4, v61, v60
	v_pack_b32_f16 v5, v69, v30
	ds_write2_b32 v192, v4, v5 offset0:34 offset1:51
	s_and_saveexec_b64 s[2:3], s[0:1]
	s_cbranch_execz .LBB0_11
; %bb.10:
	v_fma_f16 v0, v0, 2.0, -v21
	v_fma_f16 v1, v1, 2.0, -v66
	;; [unrolled: 1-line block ×4, first 2 shown]
	v_mad_legacy_u16 v4, v234, s15, v235
	v_add_lshl_u32 v4, v31, v4, 2
	v_pack_b32_f16 v2, v2, v3
	v_pack_b32_f16 v0, v0, v1
	s_mov_b32 s15, 0x5040100
	ds_write2_b32 v4, v2, v0 offset1:17
	v_perm_b32 v0, v65, v28, s15
	v_perm_b32 v1, v66, v21, s15
	ds_write2_b32 v4, v0, v1 offset0:34 offset1:51
.LBB0_11:
	s_or_b64 exec, exec, s[2:3]
	s_movk_i32 s2, 0x79
	v_add_u32_e32 v0, 0x110, v233
	v_mul_lo_u16_sdwa v2, v32, s2 dst_sel:DWORD dst_unused:UNUSED_PAD src0_sel:BYTE_0 src1_sel:DWORD
	v_lshrrev_b16_e32 v2, 13, v2
	v_mul_u32_u24_sdwa v4, v0, s14 dst_sel:DWORD dst_unused:UNUSED_PAD src0_sel:WORD_0 src1_sel:DWORD
	v_mul_lo_u16_e32 v2, 0x44, v2
	v_lshrrev_b32_e32 v4, 22, v4
	v_add_u32_e32 v1, 0x154, v233
	v_sub_u16_e32 v2, v32, v2
	v_mul_lo_u16_e32 v4, 0x44, v4
	v_and_b32_e32 v27, 0xff, v2
	v_sub_u16_e32 v30, v0, v4
	v_mul_u32_u24_sdwa v4, v1, s14 dst_sel:DWORD dst_unused:UNUSED_PAD src0_sel:WORD_0 src1_sel:DWORD
	v_lshlrev_b32_e32 v2, 2, v27
	v_lshrrev_b32_e32 v3, 22, v34
	v_lshlrev_b32_e32 v0, 2, v30
	v_lshrrev_b32_e32 v4, 22, v4
	s_waitcnt lgkmcnt(0)
	s_barrier
	v_mul_lo_u16_e32 v3, 0x44, v3
	global_load_dword v57, v2, s[4:5] offset:204
	global_load_dword v55, v0, s[4:5] offset:204
	v_mul_lo_u16_e32 v2, 0x44, v4
	v_sub_u16_e32 v29, v33, v3
	v_sub_u16_e32 v32, v1, v2
	v_lshlrev_b32_e32 v3, 2, v29
	v_lshlrev_b32_e32 v0, 2, v32
	global_load_dword v56, v3, s[4:5] offset:204
	global_load_dword v54, v0, s[4:5] offset:204
	v_add_u32_e32 v0, 0x198, v233
	global_load_dword v50, v42, s[4:5] offset:204
	v_mul_u32_u24_sdwa v1, v0, s14 dst_sel:DWORD dst_unused:UNUSED_PAD src0_sel:WORD_0 src1_sel:DWORD
	v_lshrrev_b32_e32 v1, 22, v1
	v_mul_lo_u16_e32 v1, 0x44, v1
	v_sub_u16_e32 v33, v0, v1
	v_lshlrev_b32_e32 v0, 2, v33
	global_load_dword v58, v0, s[4:5] offset:204
	ds_read2_b32 v[0:1], v46 offset1:68
	ds_read_b32 v35, v46 offset:544
	ds_read_b32 v36, v46 offset:2448
	v_add_u32_e32 v34, 0x600, v46
	v_add_u32_e32 v37, 0x200, v46
	;; [unrolled: 1-line block ×5, first 2 shown]
	ds_read2_b32 v[2:3], v34 offset0:92 offset1:160
	ds_read2_b32 v[4:5], v37 offset0:76 offset1:144
	;; [unrolled: 1-line block ×5, first 2 shown]
	s_waitcnt lgkmcnt(4)
	v_lshrrev_b32_e32 v62, 16, v2
	v_lshrrev_b32_e32 v63, 16, v3
	;; [unrolled: 1-line block ×5, first 2 shown]
	s_waitcnt lgkmcnt(2)
	v_lshrrev_b32_e32 v67, 16, v6
	v_lshrrev_b32_e32 v60, 16, v35
	;; [unrolled: 1-line block ×4, first 2 shown]
	s_waitcnt lgkmcnt(0)
	v_lshrrev_b32_e32 v71, 16, v25
	v_lshrrev_b32_e32 v73, 16, v26
	;; [unrolled: 1-line block ×3, first 2 shown]
	s_waitcnt vmcnt(0)
	s_barrier
	v_lshrrev_b32_e32 v70, 16, v23
	v_lshrrev_b32_e32 v72, 16, v24
	v_add_lshl_u32 v193, v31, v33, 2
	s_mov_b32 s14, 0xb9e0
	s_movk_i32 s15, 0x3574
	s_mov_b32 s16, 0xb574
	s_movk_i32 s17, 0x370e
	v_mul_f16_sdwa v78, v69, v55 dst_sel:DWORD dst_unused:UNUSED_PAD src0_sel:DWORD src1_sel:WORD_1
	v_mul_f16_sdwa v79, v7, v55 dst_sel:DWORD dst_unused:UNUSED_PAD src0_sel:DWORD src1_sel:WORD_1
	v_fma_f16 v7, v7, v55, -v78
	v_fma_f16 v69, v69, v55, v79
	v_sub_f16_e32 v7, v5, v7
	v_sub_f16_e32 v69, v68, v69
	v_fma_f16 v5, v5, 2.0, -v7
	v_mul_f16_sdwa v80, v71, v54 dst_sel:DWORD dst_unused:UNUSED_PAD src0_sel:DWORD src1_sel:WORD_1
	v_mul_f16_sdwa v81, v25, v54 dst_sel:DWORD dst_unused:UNUSED_PAD src0_sel:DWORD src1_sel:WORD_1
	;; [unrolled: 1-line block ×6, first 2 shown]
	v_fma_f16 v2, v2, v50, -v74
	v_fma_f16 v62, v62, v50, v75
	v_fma_f16 v3, v3, v50, -v76
	v_fma_f16 v63, v63, v50, v77
	v_mul_f16_sdwa v74, v61, v57 dst_sel:DWORD dst_unused:UNUSED_PAD src0_sel:DWORD src1_sel:WORD_1
	v_mul_f16_sdwa v75, v36, v57 dst_sel:DWORD dst_unused:UNUSED_PAD src0_sel:DWORD src1_sel:WORD_1
	v_sub_f16_e32 v2, v0, v2
	v_sub_f16_e32 v62, v43, v62
	v_mul_f16_sdwa v76, v67, v56 dst_sel:DWORD dst_unused:UNUSED_PAD src0_sel:DWORD src1_sel:WORD_1
	v_mul_f16_sdwa v77, v6, v56 dst_sel:DWORD dst_unused:UNUSED_PAD src0_sel:DWORD src1_sel:WORD_1
	v_fma_f16 v36, v36, v57, -v74
	v_fma_f16 v61, v61, v57, v75
	v_fma_f16 v0, v0, 2.0, -v2
	v_fma_f16 v43, v43, 2.0, -v62
	v_sub_f16_e32 v3, v1, v3
	v_sub_f16_e32 v63, v59, v63
	v_fma_f16 v6, v6, v56, -v76
	v_fma_f16 v67, v67, v56, v77
	v_fma_f16 v1, v1, 2.0, -v3
	v_fma_f16 v59, v59, 2.0, -v63
	v_sub_f16_e32 v36, v35, v36
	v_sub_f16_e32 v61, v60, v61
	v_pack_b32_f16 v0, v0, v43
	v_pack_b32_f16 v2, v2, v62
	v_mul_f16_sdwa v74, v73, v58 dst_sel:DWORD dst_unused:UNUSED_PAD src0_sel:DWORD src1_sel:WORD_1
	v_fma_f16 v35, v35, 2.0, -v36
	v_fma_f16 v60, v60, 2.0, -v61
	v_sub_f16_e32 v6, v4, v6
	v_sub_f16_e32 v67, v64, v67
	ds_write2_b32 v46, v0, v2 offset1:68
	v_pack_b32_f16 v0, v1, v59
	v_pack_b32_f16 v1, v3, v63
	v_add_lshl_u32 v62, v31, v27, 2
	v_fma_f16 v25, v25, v54, -v80
	v_fma_f16 v71, v71, v54, v81
	v_fma_f16 v74, v26, v58, -v74
	v_mul_f16_sdwa v26, v26, v58 dst_sel:DWORD dst_unused:UNUSED_PAD src0_sel:DWORD src1_sel:WORD_1
	v_fma_f16 v4, v4, 2.0, -v6
	v_fma_f16 v64, v64, 2.0, -v67
	ds_write2_b32 v46, v0, v1 offset0:136 offset1:204
	v_pack_b32_f16 v0, v35, v60
	v_pack_b32_f16 v1, v36, v61
	v_add_u32_e32 v2, 0x400, v62
	v_add_lshl_u32 v60, v31, v29, 2
	v_fma_f16 v26, v73, v58, v26
	v_fma_f16 v68, v68, 2.0, -v69
	v_sub_f16_e32 v25, v23, v25
	v_sub_f16_e32 v71, v70, v71
	ds_write2_b32 v2, v0, v1 offset0:16 offset1:84
	v_pack_b32_f16 v0, v4, v64
	v_pack_b32_f16 v1, v6, v67
	v_add_u32_e32 v2, 0x400, v60
	v_add_lshl_u32 v61, v31, v30, 2
	v_mad_u64_u32 v[29:30], s[2:3], v233, 24, s[4:5]
	v_fma_f16 v23, v23, 2.0, -v25
	v_fma_f16 v70, v70, 2.0, -v71
	v_sub_f16_e32 v73, v24, v74
	v_sub_f16_e32 v26, v72, v26
	ds_write2_b32 v2, v0, v1 offset0:152 offset1:220
	v_pack_b32_f16 v0, v5, v68
	v_pack_b32_f16 v1, v7, v69
	v_add_u32_e32 v2, 0x800, v61
	v_add_lshl_u32 v63, v31, v32, 2
	v_fma_f16 v24, v24, 2.0, -v73
	v_fma_f16 v72, v72, 2.0, -v26
	ds_write2_b32 v2, v0, v1 offset0:32 offset1:100
	v_pack_b32_f16 v0, v23, v70
	v_pack_b32_f16 v1, v25, v71
	v_add_u32_e32 v2, 0x800, v63
	ds_write2_b32 v2, v0, v1 offset0:168 offset1:236
	v_pack_b32_f16 v0, v24, v72
	v_pack_b32_f16 v1, v73, v26
	v_add_u32_e32 v2, 0xc00, v193
	ds_write2_b32 v2, v0, v1 offset0:48 offset1:116
	s_waitcnt lgkmcnt(0)
	s_barrier
	global_load_dwordx4 v[0:3], v[29:30], off offset:476
	global_load_dwordx2 v[23:24], v[29:30], off offset:492
	global_load_dwordx4 v[4:7], v[29:30], off offset:2108
	global_load_dwordx2 v[25:26], v[29:30], off offset:2124
	ds_read_b32 v27, v46 offset:544
	ds_read2_b32 v[35:36], v46 offset1:68
	ds_read_b32 v43, v46 offset:2448
	ds_read2_b32 v[29:30], v37 offset0:76 offset1:144
	ds_read2_b32 v[31:32], v39 offset0:84 offset1:152
	;; [unrolled: 1-line block ×5, first 2 shown]
	s_waitcnt lgkmcnt(4)
	v_lshrrev_b32_e32 v67, 16, v30
	v_lshrrev_b32_e32 v64, 16, v27
	s_waitcnt lgkmcnt(3)
	v_lshrrev_b32_e32 v68, 16, v32
	s_waitcnt lgkmcnt(2)
	;; [unrolled: 2-line block ×4, first 2 shown]
	v_lshrrev_b32_e32 v71, 16, v39
	v_lshrrev_b32_e32 v72, 16, v29
	v_lshrrev_b32_e32 v73, 16, v31
	v_lshrrev_b32_e32 v74, 16, v33
	v_lshrrev_b32_e32 v75, 16, v43
	v_lshrrev_b32_e32 v76, 16, v38
	v_lshrrev_b32_e32 v77, 16, v40
	s_movk_i32 s2, 0x2b26
	s_movk_i32 s3, 0x3b00
	s_mov_b32 s4, 0xbcab
	s_movk_i32 s5, 0x39e0
	s_waitcnt vmcnt(3)
	v_mul_f16_sdwa v78, v64, v0 dst_sel:DWORD dst_unused:UNUSED_PAD src0_sel:DWORD src1_sel:WORD_1
	v_fma_f16 v78, v27, v0, -v78
	v_mul_f16_sdwa v27, v27, v0 dst_sel:DWORD dst_unused:UNUSED_PAD src0_sel:DWORD src1_sel:WORD_1
	v_fma_f16 v27, v64, v0, v27
	v_mul_f16_sdwa v64, v67, v1 dst_sel:DWORD dst_unused:UNUSED_PAD src0_sel:DWORD src1_sel:WORD_1
	v_fma_f16 v64, v30, v1, -v64
	v_mul_f16_sdwa v30, v30, v1 dst_sel:DWORD dst_unused:UNUSED_PAD src0_sel:DWORD src1_sel:WORD_1
	v_fma_f16 v30, v67, v1, v30
	;; [unrolled: 4-line block ×4, first 2 shown]
	s_waitcnt vmcnt(2)
	v_mul_f16_sdwa v69, v70, v23 dst_sel:DWORD dst_unused:UNUSED_PAD src0_sel:DWORD src1_sel:WORD_1
	v_fma_f16 v69, v37, v23, -v69
	v_mul_f16_sdwa v37, v37, v23 dst_sel:DWORD dst_unused:UNUSED_PAD src0_sel:DWORD src1_sel:WORD_1
	v_fma_f16 v37, v70, v23, v37
	v_mul_f16_sdwa v70, v71, v24 dst_sel:DWORD dst_unused:UNUSED_PAD src0_sel:DWORD src1_sel:WORD_1
	v_fma_f16 v70, v39, v24, -v70
	v_mul_f16_sdwa v39, v39, v24 dst_sel:DWORD dst_unused:UNUSED_PAD src0_sel:DWORD src1_sel:WORD_1
	v_fma_f16 v39, v71, v24, v39
	s_waitcnt vmcnt(1)
	v_mul_f16_sdwa v71, v72, v4 dst_sel:DWORD dst_unused:UNUSED_PAD src0_sel:DWORD src1_sel:WORD_1
	v_fma_f16 v79, v29, v4, -v71
	v_mul_f16_sdwa v29, v29, v4 dst_sel:DWORD dst_unused:UNUSED_PAD src0_sel:DWORD src1_sel:WORD_1
	v_fma_f16 v80, v72, v4, v29
	v_mul_f16_sdwa v29, v73, v5 dst_sel:DWORD dst_unused:UNUSED_PAD src0_sel:DWORD src1_sel:WORD_1
	v_fma_f16 v81, v31, v5, -v29
	v_mul_f16_sdwa v29, v31, v5 dst_sel:DWORD dst_unused:UNUSED_PAD src0_sel:DWORD src1_sel:WORD_1
	v_fma_f16 v82, v73, v5, v29
	;; [unrolled: 4-line block ×4, first 2 shown]
	s_waitcnt vmcnt(0)
	v_mul_f16_sdwa v29, v76, v25 dst_sel:DWORD dst_unused:UNUSED_PAD src0_sel:DWORD src1_sel:WORD_1
	v_fma_f16 v75, v38, v25, -v29
	v_mul_f16_sdwa v29, v38, v25 dst_sel:DWORD dst_unused:UNUSED_PAD src0_sel:DWORD src1_sel:WORD_1
	v_fma_f16 v38, v76, v25, v29
	v_mul_f16_sdwa v29, v77, v26 dst_sel:DWORD dst_unused:UNUSED_PAD src0_sel:DWORD src1_sel:WORD_1
	v_fma_f16 v76, v40, v26, -v29
	v_mul_f16_sdwa v29, v40, v26 dst_sel:DWORD dst_unused:UNUSED_PAD src0_sel:DWORD src1_sel:WORD_1
	v_fma_f16 v40, v77, v26, v29
	v_add_f16_e32 v29, v78, v70
	v_add_f16_e32 v31, v27, v39
	v_sub_f16_e32 v33, v78, v70
	v_sub_f16_e32 v27, v27, v39
	v_add_f16_e32 v39, v64, v69
	v_add_f16_e32 v70, v30, v37
	v_sub_f16_e32 v64, v64, v69
	v_sub_f16_e32 v30, v30, v37
	;; [unrolled: 4-line block ×4, first 2 shown]
	v_sub_f16_e32 v29, v29, v37
	v_sub_f16_e32 v31, v31, v69
	;; [unrolled: 1-line block ×4, first 2 shown]
	v_add_f16_e32 v73, v67, v64
	v_add_f16_e32 v74, v32, v30
	v_sub_f16_e32 v77, v67, v64
	v_sub_f16_e32 v78, v32, v30
	;; [unrolled: 1-line block ×3, first 2 shown]
	v_add_f16_e32 v34, v37, v34
	v_add_f16_e32 v37, v69, v68
	v_sub_f16_e32 v86, v33, v67
	v_sub_f16_e32 v32, v27, v32
	;; [unrolled: 1-line block ×3, first 2 shown]
	v_add_f16_e32 v33, v73, v33
	v_add_f16_e32 v27, v74, v27
	;; [unrolled: 1-line block ×3, first 2 shown]
	v_add_f16_sdwa v68, v35, v37 dst_sel:DWORD dst_unused:UNUSED_PAD src0_sel:WORD_1 src1_sel:DWORD
	v_mul_f16_e32 v29, 0x3a52, v29
	v_mul_f16_e32 v31, 0x3a52, v31
	;; [unrolled: 1-line block ×8, first 2 shown]
	v_fma_f16 v34, v34, s4, v67
	v_fma_f16 v37, v37, s4, v68
	;; [unrolled: 1-line block ×4, first 2 shown]
	v_fma_f16 v35, v71, s5, -v35
	v_fma_f16 v69, v72, s5, -v69
	v_fma_f16 v29, v71, s14, -v29
	v_fma_f16 v31, v72, s14, -v31
	v_fma_f16 v72, v32, s15, v74
	v_fma_f16 v64, v64, s3, -v73
	v_fma_f16 v30, v30, s3, -v74
	v_fma_f16 v32, v32, s16, -v78
	v_fma_f16 v71, v86, s15, v73
	v_fma_f16 v73, v86, s16, -v77
	v_add_f16_e32 v39, v39, v34
	v_add_f16_e32 v35, v35, v34
	v_add_f16_e32 v77, v69, v37
	v_add_f16_e32 v34, v29, v34
	v_fma_f16 v86, v27, s17, v72
	v_fma_f16 v64, v33, s17, v64
	;; [unrolled: 1-line block ×4, first 2 shown]
	v_add_f16_e32 v74, v70, v37
	v_add_f16_e32 v37, v31, v37
	v_fma_f16 v78, v33, s17, v71
	v_fma_f16 v73, v33, s17, v73
	v_add_f16_e32 v29, v86, v39
	v_add_f16_e32 v30, v27, v34
	v_sub_f16_e32 v31, v35, v72
	v_add_f16_e32 v71, v64, v77
	v_add_f16_e32 v32, v72, v35
	v_sub_f16_e32 v72, v77, v64
	v_sub_f16_e32 v33, v34, v27
	;; [unrolled: 1-line block ×3, first 2 shown]
	v_add_f16_e32 v27, v79, v76
	v_add_f16_e32 v35, v80, v40
	v_sub_f16_e32 v39, v80, v40
	v_add_f16_e32 v40, v81, v75
	v_add_f16_e32 v64, v82, v38
	v_sub_f16_e32 v69, v74, v78
	v_sub_f16_e32 v70, v37, v73
	v_add_f16_e32 v73, v73, v37
	v_add_f16_e32 v74, v78, v74
	v_sub_f16_e32 v37, v79, v76
	v_sub_f16_e32 v75, v81, v75
	v_sub_f16_e32 v38, v82, v38
	v_add_f16_e32 v76, v83, v85
	v_add_f16_e32 v77, v84, v43
	v_sub_f16_e32 v78, v85, v83
	v_sub_f16_e32 v43, v43, v84
	v_add_f16_e32 v79, v40, v27
	v_add_f16_e32 v80, v64, v35
	v_sub_f16_e32 v81, v40, v27
	v_sub_f16_e32 v82, v64, v35
	;; [unrolled: 1-line block ×6, first 2 shown]
	v_add_f16_e32 v35, v78, v75
	v_add_f16_e32 v84, v43, v38
	v_sub_f16_e32 v85, v78, v75
	v_sub_f16_e32 v86, v43, v38
	;; [unrolled: 1-line block ×3, first 2 shown]
	v_add_f16_e32 v76, v76, v79
	v_add_f16_e32 v77, v77, v80
	v_sub_f16_e32 v78, v37, v78
	v_sub_f16_e32 v43, v39, v43
	;; [unrolled: 1-line block ×3, first 2 shown]
	v_add_f16_e32 v37, v35, v37
	v_add_f16_e32 v39, v84, v39
	;; [unrolled: 1-line block ×3, first 2 shown]
	v_add_f16_sdwa v75, v36, v77 dst_sel:DWORD dst_unused:UNUSED_PAD src0_sel:WORD_1 src1_sel:DWORD
	v_mul_f16_e32 v27, 0x3a52, v27
	v_mul_f16_e32 v36, 0x3a52, v83
	;; [unrolled: 1-line block ×8, first 2 shown]
	v_fma_f16 v76, v76, s4, v35
	v_fma_f16 v77, v77, s4, v75
	;; [unrolled: 1-line block ×4, first 2 shown]
	v_fma_f16 v79, v81, s5, -v79
	v_fma_f16 v80, v82, s5, -v80
	v_fma_f16 v27, v81, s14, -v27
	v_fma_f16 v36, v82, s14, -v36
	v_fma_f16 v81, v78, s15, v83
	v_fma_f16 v82, v43, s15, v84
	v_fma_f16 v38, v38, s3, -v84
	v_fma_f16 v43, v43, s16, -v86
	;; [unrolled: 1-line block ×4, first 2 shown]
	v_add_f16_e32 v84, v40, v76
	v_add_f16_e32 v64, v64, v77
	;; [unrolled: 1-line block ×4, first 2 shown]
	v_fma_f16 v81, v37, s17, v81
	v_fma_f16 v85, v39, s17, v38
	;; [unrolled: 1-line block ×6, first 2 shown]
	v_sub_f16_e32 v76, v64, v81
	v_add_f16_e32 v37, v43, v27
	v_sub_f16_e32 v38, v40, v85
	v_add_f16_e32 v39, v85, v40
	;; [unrolled: 2-line block ×3, first 2 shown]
	v_lshl_add_u32 v64, v233, 2, v232
	v_pack_b32_f16 v43, v67, v68
	v_add_f16_e32 v79, v80, v77
	v_add_f16_e32 v80, v36, v77
	;; [unrolled: 1-line block ×3, first 2 shown]
	v_sub_f16_e32 v27, v84, v82
	ds_write_b32 v64, v43
	v_add_u32_e32 v43, v232, v42
	v_pack_b32_f16 v82, v29, v69
	v_pack_b32_f16 v85, v35, v75
	v_sub_f16_e32 v77, v80, v86
	v_add_f16_e32 v78, v83, v79
	v_sub_f16_e32 v79, v79, v83
	v_pack_b32_f16 v83, v30, v70
	ds_write2_b32 v43, v85, v82 offset0:68 offset1:136
	v_pack_b32_f16 v82, v36, v76
	v_add_u32_e32 v85, 0x200, v43
	v_pack_b32_f16 v84, v31, v71
	ds_write2_b32 v85, v82, v83 offset0:76 offset1:144
	v_pack_b32_f16 v82, v37, v77
	v_add_u32_e32 v85, 0x400, v43
	v_add_f16_e32 v80, v86, v80
	v_pack_b32_f16 v86, v32, v72
	ds_write2_b32 v85, v82, v84 offset0:84 offset1:152
	v_pack_b32_f16 v82, v38, v78
	v_add_u32_e32 v84, 0x600, v43
	v_pack_b32_f16 v87, v33, v73
	ds_write2_b32 v84, v82, v86 offset0:92 offset1:160
	v_pack_b32_f16 v82, v39, v79
	v_add_u32_e32 v83, 0x800, v43
	;; [unrolled: 4-line block ×3, first 2 shown]
	ds_write2_b32 v82, v86, v88 offset0:108 offset1:176
	v_pack_b32_f16 v86, v27, v81
	ds_write_b32 v43, v86 offset:3536
	s_waitcnt lgkmcnt(0)
	s_barrier
	s_and_saveexec_b64 s[2:3], vcc
	s_cbranch_execz .LBB0_13
; %bb.12:
	global_load_dword v86, v42, s[6:7] offset:3808
	s_add_u32 s4, s6, 0xee0
	s_addc_u32 s5, s7, 0
	global_load_dword v98, v42, s[4:5] offset:224
	global_load_dword v99, v42, s[4:5] offset:448
	;; [unrolled: 1-line block ×10, first 2 shown]
	ds_read_b32 v87, v64
	global_load_dword v108, v42, s[4:5] offset:2464
	global_load_dword v109, v42, s[4:5] offset:2688
	;; [unrolled: 1-line block ×6, first 2 shown]
	s_waitcnt lgkmcnt(0)
	v_lshrrev_b32_e32 v88, 16, v87
	s_waitcnt vmcnt(16)
	v_mul_f16_sdwa v89, v88, v86 dst_sel:DWORD dst_unused:UNUSED_PAD src0_sel:DWORD src1_sel:WORD_1
	v_mul_f16_sdwa v90, v87, v86 dst_sel:DWORD dst_unused:UNUSED_PAD src0_sel:DWORD src1_sel:WORD_1
	v_fma_f16 v87, v87, v86, -v89
	v_fma_f16 v86, v88, v86, v90
	v_pack_b32_f16 v86, v87, v86
	ds_write_b32 v64, v86
	ds_read2_b32 v[86:87], v43 offset0:56 offset1:112
	ds_read2_b32 v[88:89], v43 offset0:168 offset1:224
	;; [unrolled: 1-line block ×6, first 2 shown]
	s_waitcnt lgkmcnt(5)
	v_lshrrev_b32_e32 v114, 16, v86
	s_waitcnt vmcnt(15)
	v_mul_f16_sdwa v115, v86, v98 dst_sel:DWORD dst_unused:UNUSED_PAD src0_sel:DWORD src1_sel:WORD_1
	v_lshrrev_b32_e32 v116, 16, v87
	s_waitcnt vmcnt(14)
	v_mul_f16_sdwa v117, v87, v99 dst_sel:DWORD dst_unused:UNUSED_PAD src0_sel:DWORD src1_sel:WORD_1
	s_waitcnt lgkmcnt(4)
	v_lshrrev_b32_e32 v118, 16, v88
	s_waitcnt vmcnt(13)
	v_mul_f16_sdwa v119, v88, v100 dst_sel:DWORD dst_unused:UNUSED_PAD src0_sel:DWORD src1_sel:WORD_1
	v_lshrrev_b32_e32 v120, 16, v89
	s_waitcnt vmcnt(12)
	v_mul_f16_sdwa v121, v89, v101 dst_sel:DWORD dst_unused:UNUSED_PAD src0_sel:DWORD src1_sel:WORD_1
	;; [unrolled: 7-line block ×3, first 2 shown]
	s_waitcnt lgkmcnt(2)
	v_lshrrev_b32_e32 v126, 16, v92
	s_waitcnt vmcnt(9)
	v_mul_f16_sdwa v127, v92, v104 dst_sel:DWORD dst_unused:UNUSED_PAD src0_sel:DWORD src1_sel:WORD_1
	v_lshrrev_b32_e32 v128, 16, v93
	v_mul_f16_sdwa v133, v114, v98 dst_sel:DWORD dst_unused:UNUSED_PAD src0_sel:DWORD src1_sel:WORD_1
	v_fma_f16 v114, v114, v98, v115
	v_mul_f16_sdwa v115, v116, v99 dst_sel:DWORD dst_unused:UNUSED_PAD src0_sel:DWORD src1_sel:WORD_1
	s_waitcnt vmcnt(8)
	v_mul_f16_sdwa v129, v93, v105 dst_sel:DWORD dst_unused:UNUSED_PAD src0_sel:DWORD src1_sel:WORD_1
	v_fma_f16 v116, v116, v99, v117
	v_mul_f16_sdwa v117, v118, v100 dst_sel:DWORD dst_unused:UNUSED_PAD src0_sel:DWORD src1_sel:WORD_1
	v_fma_f16 v118, v118, v100, v119
	;; [unrolled: 2-line block ×6, first 2 shown]
	v_mul_f16_sdwa v127, v128, v105 dst_sel:DWORD dst_unused:UNUSED_PAD src0_sel:DWORD src1_sel:WORD_1
	v_fma_f16 v86, v86, v98, -v133
	v_fma_f16 v87, v87, v99, -v115
	s_waitcnt lgkmcnt(1)
	v_lshrrev_b32_e32 v130, 16, v94
	s_waitcnt vmcnt(7)
	v_mul_f16_sdwa v131, v94, v106 dst_sel:DWORD dst_unused:UNUSED_PAD src0_sel:DWORD src1_sel:WORD_1
	v_lshrrev_b32_e32 v132, 16, v95
	v_fma_f16 v128, v128, v105, v129
	v_fma_f16 v88, v88, v100, -v117
	v_fma_f16 v89, v89, v101, -v119
	;; [unrolled: 1-line block ×6, first 2 shown]
	v_pack_b32_f16 v86, v86, v114
	v_pack_b32_f16 v87, v87, v116
	v_mul_f16_sdwa v129, v130, v106 dst_sel:DWORD dst_unused:UNUSED_PAD src0_sel:DWORD src1_sel:WORD_1
	v_fma_f16 v130, v130, v106, v131
	s_waitcnt vmcnt(6)
	v_mul_f16_sdwa v131, v132, v107 dst_sel:DWORD dst_unused:UNUSED_PAD src0_sel:DWORD src1_sel:WORD_1
	v_pack_b32_f16 v88, v88, v118
	v_pack_b32_f16 v89, v89, v120
	;; [unrolled: 1-line block ×6, first 2 shown]
	ds_write2_b32 v43, v86, v87 offset0:56 offset1:112
	ds_write2_b32 v43, v88, v89 offset0:168 offset1:224
	;; [unrolled: 1-line block ×4, first 2 shown]
	v_mul_f16_sdwa v85, v95, v107 dst_sel:DWORD dst_unused:UNUSED_PAD src0_sel:DWORD src1_sel:WORD_1
	v_fma_f16 v94, v94, v106, -v129
	v_fma_f16 v98, v95, v107, -v131
	v_fma_f16 v85, v132, v107, v85
	v_pack_b32_f16 v94, v94, v130
	v_pack_b32_f16 v85, v98, v85
	ds_write2_b32 v84, v94, v85 offset0:120 offset1:176
	s_waitcnt lgkmcnt(5)
	v_lshrrev_b32_e32 v84, 16, v96
	s_waitcnt vmcnt(5)
	v_mul_f16_sdwa v85, v84, v108 dst_sel:DWORD dst_unused:UNUSED_PAD src0_sel:DWORD src1_sel:WORD_1
	v_mul_f16_sdwa v86, v96, v108 dst_sel:DWORD dst_unused:UNUSED_PAD src0_sel:DWORD src1_sel:WORD_1
	v_fma_f16 v85, v96, v108, -v85
	v_fma_f16 v84, v84, v108, v86
	v_lshrrev_b32_e32 v87, 16, v97
	v_pack_b32_f16 v86, v85, v84
	s_waitcnt vmcnt(4)
	v_mul_f16_sdwa v84, v87, v109 dst_sel:DWORD dst_unused:UNUSED_PAD src0_sel:DWORD src1_sel:WORD_1
	v_fma_f16 v88, v97, v109, -v84
	ds_read2_b32 v[84:85], v82 offset0:88 offset1:144
	v_mul_f16_sdwa v89, v97, v109 dst_sel:DWORD dst_unused:UNUSED_PAD src0_sel:DWORD src1_sel:WORD_1
	v_fma_f16 v87, v87, v109, v89
	v_pack_b32_f16 v87, v88, v87
	ds_write2_b32 v83, v86, v87 offset0:104 offset1:160
	s_waitcnt lgkmcnt(1)
	v_lshrrev_b32_e32 v83, 16, v84
	s_waitcnt vmcnt(3)
	v_mul_f16_sdwa v86, v83, v110 dst_sel:DWORD dst_unused:UNUSED_PAD src0_sel:DWORD src1_sel:WORD_1
	v_fma_f16 v86, v84, v110, -v86
	v_mul_f16_sdwa v84, v84, v110 dst_sel:DWORD dst_unused:UNUSED_PAD src0_sel:DWORD src1_sel:WORD_1
	v_fma_f16 v83, v83, v110, v84
	v_lshrrev_b32_e32 v87, 16, v85
	v_pack_b32_f16 v86, v86, v83
	s_waitcnt vmcnt(2)
	v_mul_f16_sdwa v83, v87, v111 dst_sel:DWORD dst_unused:UNUSED_PAD src0_sel:DWORD src1_sel:WORD_1
	v_add_u32_e32 v89, 0xc00, v43
	v_fma_f16 v88, v85, v111, -v83
	ds_read2_b32 v[83:84], v89 offset0:72 offset1:128
	v_mul_f16_sdwa v85, v85, v111 dst_sel:DWORD dst_unused:UNUSED_PAD src0_sel:DWORD src1_sel:WORD_1
	v_fma_f16 v85, v87, v111, v85
	v_pack_b32_f16 v85, v88, v85
	ds_write2_b32 v82, v86, v85 offset0:88 offset1:144
	s_waitcnt lgkmcnt(1)
	v_lshrrev_b32_e32 v82, 16, v83
	s_waitcnt vmcnt(1)
	v_mul_f16_sdwa v85, v82, v112 dst_sel:DWORD dst_unused:UNUSED_PAD src0_sel:DWORD src1_sel:WORD_1
	v_fma_f16 v85, v83, v112, -v85
	v_mul_f16_sdwa v83, v83, v112 dst_sel:DWORD dst_unused:UNUSED_PAD src0_sel:DWORD src1_sel:WORD_1
	v_fma_f16 v82, v82, v112, v83
	v_lshrrev_b32_e32 v83, 16, v84
	v_pack_b32_f16 v82, v85, v82
	s_waitcnt vmcnt(0)
	v_mul_f16_sdwa v85, v83, v113 dst_sel:DWORD dst_unused:UNUSED_PAD src0_sel:DWORD src1_sel:WORD_1
	v_fma_f16 v85, v84, v113, -v85
	v_mul_f16_sdwa v84, v84, v113 dst_sel:DWORD dst_unused:UNUSED_PAD src0_sel:DWORD src1_sel:WORD_1
	v_fma_f16 v83, v83, v113, v84
	v_pack_b32_f16 v83, v85, v83
	ds_write2_b32 v89, v82, v83 offset0:72 offset1:128
.LBB0_13:
	s_or_b64 exec, exec, s[2:3]
	s_waitcnt lgkmcnt(0)
	s_barrier
	s_and_saveexec_b64 s[2:3], vcc
	s_cbranch_execz .LBB0_15
; %bb.14:
	v_add_u32_e32 v21, 0x400, v64
	ds_read_b32 v67, v64
	ds_read2_b32 v[29:30], v64 offset0:56 offset1:112
	ds_read2_b32 v[31:32], v64 offset0:168 offset1:224
	;; [unrolled: 1-line block ×4, first 2 shown]
	v_add_u32_e32 v21, 0x600, v64
	ds_read2_b32 v[37:38], v21 offset0:120 offset1:176
	v_add_u32_e32 v21, 0x800, v64
	ds_read2_b32 v[39:40], v21 offset0:104 offset1:160
	;; [unrolled: 2-line block ×4, first 2 shown]
	s_waitcnt lgkmcnt(8)
	v_lshrrev_b32_e32 v68, 16, v67
	s_waitcnt lgkmcnt(7)
	v_lshrrev_b32_e32 v69, 16, v29
	v_lshrrev_b32_e32 v70, 16, v30
	s_waitcnt lgkmcnt(6)
	v_lshrrev_b32_e32 v71, 16, v31
	;; [unrolled: 3-line block ×8, first 2 shown]
	v_lshrrev_b32_e32 v47, 16, v22
.LBB0_15:
	s_or_b64 exec, exec, s[2:3]
	v_sub_f16_e32 v95, v69, v47
	v_add_f16_e32 v89, v22, v29
	v_add_f16_e32 v98, v47, v69
	s_movk_i32 s4, 0x39e9
	v_mul_f16_e32 v101, 0xb964, v95
	v_sub_f16_e32 v99, v70, v66
	v_sub_f16_e32 v91, v29, v22
	s_mov_b32 s15, 0xb964
	v_mul_f16_e32 v104, 0x39e9, v98
	v_fma_f16 v82, v89, s4, -v101
	s_movk_i32 s14, 0x2de8
	v_add_f16_e32 v92, v21, v30
	v_add_f16_e32 v103, v66, v70
	v_mul_f16_e32 v108, 0xbbf7, v99
	v_add_f16_e32 v82, v67, v82
	v_fma_f16 v83, v91, s15, v104
	s_movk_i32 s5, 0x3722
	v_mul_f16_e32 v109, 0xbb29, v95
	s_mov_b32 s18, 0xbbf7
	v_sub_f16_e32 v93, v30, v21
	v_mul_f16_e32 v111, 0x2de8, v103
	v_fma_f16 v94, v92, s14, -v108
	v_add_f16_e32 v83, v68, v83
	s_mov_b32 s17, 0xbb29
	v_mul_f16_e32 v114, 0x3722, v98
	v_fma_f16 v84, v89, s5, -v109
	v_add_f16_e32 v82, v94, v82
	v_fma_f16 v94, v93, s18, v111
	s_mov_b32 s19, 0xb8d2
	v_mul_f16_e32 v118, 0xba62, v99
	v_add_f16_e32 v84, v67, v84
	v_fma_f16 v85, v91, s17, v114
	v_mul_f16_e32 v121, 0xbbf7, v95
	v_add_f16_e32 v83, v94, v83
	s_mov_b32 s23, 0xba62
	v_mul_f16_e32 v124, 0xb8d2, v103
	v_fma_f16 v94, v92, s19, -v118
	v_add_f16_e32 v85, v68, v85
	v_mul_f16_e32 v126, 0x2de8, v98
	v_fma_f16 v86, v89, s14, -v121
	v_add_f16_e32 v84, v94, v84
	v_fma_f16 v94, v93, s23, v124
	s_mov_b32 s21, 0xbbdd
	v_mul_f16_e32 v132, 0xb1e1, v99
	v_add_f16_e32 v86, v67, v86
	v_fma_f16 v87, v91, s18, v126
	s_mov_b32 s16, 0xb461
	v_mul_f16_e32 v133, 0xbbb2, v95
	v_add_f16_e32 v85, v94, v85
	s_mov_b32 s24, 0xb1e1
	v_mul_f16_e32 v137, 0xbbdd, v103
	v_fma_f16 v94, v92, s21, -v132
	v_add_f16_e32 v87, v68, v87
	s_mov_b32 s20, 0xbbb2
	v_mul_f16_e32 v140, 0xb461, v98
	v_fma_f16 v88, v89, s16, -v133
	v_add_f16_e32 v86, v94, v86
	v_fma_f16 v94, v93, s24, v137
	s_mov_b32 s22, 0xbacd
	v_mul_f16_e32 v146, 0x3836, v99
	v_add_f16_e32 v88, v67, v88
	v_fma_f16 v90, v91, s20, v140
	v_add_f16_e32 v87, v94, v87
	s_movk_i32 s26, 0x3836
	v_mul_f16_e32 v151, 0xbacd, v103
	v_fma_f16 v94, v92, s22, -v146
	v_add_f16_e32 v90, v68, v90
	v_add_f16_e32 v88, v94, v88
	v_fma_f16 v94, v93, s26, v151
	v_sub_f16_e32 v105, v71, v65
	v_add_f16_e32 v90, v94, v90
	v_add_f16_e32 v94, v28, v31
	;; [unrolled: 1-line block ×3, first 2 shown]
	v_mul_f16_e32 v116, 0xba62, v105
	v_sub_f16_e32 v96, v31, v28
	v_mul_f16_e32 v122, 0xb8d2, v110
	v_fma_f16 v97, v94, s19, -v116
	v_add_f16_e32 v82, v97, v82
	v_fma_f16 v97, v96, s23, v122
	v_mul_f16_e32 v129, 0x31e1, v105
	v_add_f16_e32 v83, v97, v83
	s_movk_i32 s27, 0x31e1
	v_mul_f16_e32 v134, 0xbbdd, v110
	v_fma_f16 v97, v94, s21, -v129
	v_add_f16_e32 v84, v97, v84
	v_fma_f16 v97, v96, s27, v134
	v_mul_f16_e32 v142, 0x3bb2, v105
	v_add_f16_e32 v85, v97, v85
	s_movk_i32 s28, 0x3bb2
	;; [unrolled: 7-line block ×3, first 2 shown]
	v_mul_f16_e32 v161, 0x39e9, v110
	v_fma_f16 v97, v94, s4, -v156
	v_add_f16_e32 v88, v97, v88
	v_fma_f16 v97, v96, s31, v161
	v_sub_f16_e32 v112, v72, v81
	v_add_f16_e32 v90, v97, v90
	v_add_f16_e32 v97, v27, v32
	;; [unrolled: 1-line block ×3, first 2 shown]
	v_mul_f16_e32 v125, 0xb1e1, v112
	v_sub_f16_e32 v100, v32, v27
	v_mul_f16_e32 v131, 0xbbdd, v117
	v_fma_f16 v102, v97, s21, -v125
	v_add_f16_e32 v82, v102, v82
	v_fma_f16 v102, v100, s24, v131
	v_mul_f16_e32 v139, 0x3bb2, v112
	v_add_f16_e32 v83, v102, v83
	v_mul_f16_e32 v144, 0xb461, v117
	v_fma_f16 v102, v97, s16, -v139
	v_add_f16_e32 v84, v102, v84
	v_fma_f16 v102, v100, s28, v144
	s_movk_i32 s25, 0x3b76
	v_mul_f16_e32 v152, 0x35c8, v112
	v_add_f16_e32 v85, v102, v85
	s_movk_i32 s33, 0x35c8
	v_mul_f16_e32 v158, 0x3b76, v117
	v_fma_f16 v102, v97, s25, -v152
	v_add_f16_e32 v86, v102, v86
	v_fma_f16 v102, v100, s33, v158
	v_mul_f16_e32 v164, 0xbb29, v112
	v_add_f16_e32 v87, v102, v87
	v_mul_f16_e32 v169, 0x3722, v117
	v_fma_f16 v102, v97, s5, -v164
	v_add_f16_e32 v88, v102, v88
	v_fma_f16 v102, v100, s17, v169
	v_sub_f16_e32 v119, v73, v80
	v_add_f16_e32 v90, v102, v90
	v_add_f16_e32 v102, v40, v33
	;; [unrolled: 1-line block ×3, first 2 shown]
	v_mul_f16_e32 v135, 0x3836, v119
	v_sub_f16_e32 v106, v33, v40
	v_mul_f16_e32 v141, 0xbacd, v127
	v_fma_f16 v107, v102, s22, -v135
	v_add_f16_e32 v82, v107, v82
	v_fma_f16 v107, v106, s26, v141
	v_mul_f16_e32 v149, 0x3964, v119
	v_add_f16_e32 v83, v107, v83
	v_mul_f16_e32 v153, 0x39e9, v127
	v_fma_f16 v107, v102, s4, -v149
	v_add_f16_e32 v84, v107, v84
	v_fma_f16 v107, v106, s31, v153
	v_mul_f16_e32 v160, 0xbb29, v119
	v_add_f16_e32 v85, v107, v85
	;; [unrolled: 6-line block ×3, first 2 shown]
	v_mul_f16_e32 v174, 0xbbdd, v127
	v_fma_f16 v107, v102, s21, -v171
	v_add_f16_e32 v88, v107, v88
	v_fma_f16 v107, v106, s24, v174
	v_sub_f16_e32 v128, v74, v79
	v_add_f16_e32 v90, v107, v90
	v_add_f16_e32 v107, v39, v34
	;; [unrolled: 1-line block ×3, first 2 shown]
	v_mul_f16_e32 v143, 0x3bb2, v128
	v_sub_f16_e32 v113, v34, v39
	v_mul_f16_e32 v150, 0xb461, v136
	v_fma_f16 v115, v107, s16, -v143
	v_add_f16_e32 v82, v115, v82
	v_fma_f16 v115, v113, s28, v150
	v_mul_f16_e32 v157, 0xb5c8, v128
	v_add_f16_e32 v83, v115, v83
	s_mov_b32 s30, 0xb5c8
	v_mul_f16_e32 v162, 0x3b76, v136
	v_fma_f16 v115, v107, s25, -v157
	v_add_f16_e32 v84, v115, v84
	v_fma_f16 v115, v113, s30, v162
	v_mul_f16_e32 v168, 0xb836, v128
	v_add_f16_e32 v85, v115, v85
	s_mov_b32 s29, 0xb836
	v_mul_f16_e32 v172, 0xbacd, v136
	v_fma_f16 v115, v107, s22, -v168
	v_add_f16_e32 v86, v115, v86
	v_fma_f16 v115, v113, s29, v172
	v_mul_f16_e32 v177, 0x3bf7, v128
	v_add_f16_e32 v87, v115, v87
	s_movk_i32 s34, 0x3bf7
	v_mul_f16_e32 v180, 0x2de8, v136
	v_fma_f16 v115, v107, s14, -v177
	v_add_f16_e32 v88, v115, v88
	v_fma_f16 v115, v113, s34, v180
	v_sub_f16_e32 v138, v75, v78
	v_add_f16_e32 v90, v115, v90
	v_add_f16_e32 v115, v38, v35
	;; [unrolled: 1-line block ×3, first 2 shown]
	v_mul_f16_e32 v154, 0x3b29, v138
	v_sub_f16_e32 v120, v35, v38
	s_movk_i32 s35, 0x3b29
	v_mul_f16_e32 v159, 0x3722, v145
	v_fma_f16 v123, v115, s5, -v154
	v_add_f16_e32 v82, v123, v82
	v_fma_f16 v123, v120, s35, v159
	v_mul_f16_e32 v166, 0xbbf7, v138
	v_add_f16_e32 v83, v123, v83
	v_mul_f16_e32 v170, 0x2de8, v145
	v_fma_f16 v123, v115, s14, -v166
	v_add_f16_e32 v84, v123, v84
	v_fma_f16 v123, v120, s18, v170
	v_mul_f16_e32 v175, 0x3a62, v138
	v_add_f16_e32 v179, v123, v85
	s_movk_i32 s36, 0x3a62
	v_mul_f16_e32 v178, 0xb8d2, v145
	v_fma_f16 v85, v115, s19, -v175
	v_add_f16_e32 v184, v85, v86
	v_fma_f16 v85, v120, s36, v178
	v_mul_f16_e32 v181, 0xb5c8, v138
	v_add_f16_e32 v87, v85, v87
	v_mul_f16_e32 v183, 0x3b76, v145
	v_fma_f16 v85, v115, s25, -v181
	v_sub_f16_e32 v147, v76, v77
	v_add_f16_e32 v186, v85, v88
	v_fma_f16 v85, v120, s30, v183
	v_add_f16_e32 v123, v37, v36
	v_add_f16_e32 v155, v77, v76
	v_mul_f16_e32 v163, 0x35c8, v147
	v_add_f16_e32 v187, v85, v90
	v_sub_f16_e32 v130, v36, v37
	v_mul_f16_e32 v167, 0x3b76, v155
	v_fma_f16 v85, v123, s25, -v163
	v_add_f16_e32 v82, v85, v82
	v_fma_f16 v85, v130, s33, v167
	v_mul_f16_e32 v173, 0xb836, v147
	v_add_f16_e32 v85, v85, v83
	v_mul_f16_e32 v176, 0xbacd, v155
	v_fma_f16 v83, v123, s22, -v173
	v_add_f16_e32 v86, v83, v84
	v_fma_f16 v83, v130, s29, v176
	v_add_f16_e32 v88, v83, v179
	v_mul_f16_e32 v179, 0x3964, v147
	v_mul_f16_e32 v182, 0x39e9, v155
	v_fma_f16 v83, v123, s4, -v179
	v_add_f16_e32 v84, v83, v184
	v_fma_f16 v83, v130, s31, v182
	v_mul_f16_e32 v184, 0xba62, v147
	v_mul_f16_e32 v185, 0xb8d2, v155
	v_add_f16_e32 v90, v83, v87
	v_fma_f16 v83, v123, s19, -v184
	v_fma_f16 v87, v130, s23, v185
	v_add_f16_e32 v83, v83, v186
	v_add_f16_e32 v87, v87, v187
	s_barrier
	s_and_saveexec_b64 s[2:3], vcc
	s_cbranch_execz .LBB0_17
; %bb.16:
	v_mul_f16_e32 v236, 0xba62, v91
	v_fma_f16 v237, v98, s19, v236
	v_mul_f16_e32 v238, 0x3bb2, v93
	v_add_f16_e32 v237, v68, v237
	v_fma_f16 v239, v103, s16, v238
	v_add_f16_e32 v237, v239, v237
	v_mul_f16_e32 v239, 0xb5c8, v96
	v_fma_f16 v240, v110, s25, v239
	v_add_f16_e32 v237, v240, v237
	v_mul_f16_e32 v240, 0xb836, v100
	;; [unrolled: 3-line block ×7, first 2 shown]
	v_fma_f16 v246, v89, s19, -v245
	v_mul_f16_e32 v247, 0x3bb2, v99
	v_add_f16_e32 v246, v67, v246
	v_fma_f16 v248, v92, s16, -v247
	v_add_f16_e32 v246, v248, v246
	v_mul_f16_e32 v248, 0xb5c8, v105
	v_fma_f16 v249, v94, s25, -v248
	v_add_f16_e32 v246, v249, v246
	v_mul_f16_e32 v249, 0xb836, v112
	;; [unrolled: 3-line block ×6, first 2 shown]
	v_fma_f16 v254, v123, s5, -v253
	buffer_store_dword v44, off, s[48:51], 0 offset:16 ; 4-byte Folded Spill
	v_add_f16_e32 v44, v254, v246
	v_mul_f16_e32 v254, 0xb836, v91
	v_fma_f16 v255, v98, s22, v254
	v_mul_f16_e32 v45, 0x3b29, v93
	buffer_store_dword v44, off, s[48:51], 0 offset:20 ; 4-byte Folded Spill
	v_add_f16_e32 v255, v68, v255
	v_fma_f16 v44, v103, s5, v45
	v_add_f16_e32 v44, v44, v255
	v_mul_f16_e32 v255, 0xbbf7, v96
	v_fma_f16 v48, v110, s14, v255
	v_add_f16_e32 v44, v48, v44
	v_mul_f16_e32 v48, 0x3a62, v100
	;; [unrolled: 3-line block ×4, first 2 shown]
	buffer_store_dword v60, off, s[48:51], 0 offset:4 ; 4-byte Folded Spill
	v_fma_f16 v60, v136, s21, v59
	v_add_f16_e32 v44, v60, v44
	v_mul_f16_e32 v60, 0x3964, v120
	buffer_store_dword v61, off, s[48:51], 0 offset:8 ; 4-byte Folded Spill
	v_fma_f16 v61, v145, s4, v60
	v_add_f16_e32 v44, v61, v44
	v_mul_f16_e32 v61, 0xbbb2, v130
	buffer_store_dword v62, off, s[48:51], 0 ; 4-byte Folded Spill
	v_fma_f16 v62, v155, s16, v61
	v_add_f16_e32 v44, v62, v44
	v_mul_f16_e32 v62, 0xb836, v95
	buffer_store_dword v63, off, s[48:51], 0 offset:12 ; 4-byte Folded Spill
	v_fma_f16 v63, v89, s22, -v62
	v_mul_f16_e32 v51, 0x3b29, v99
	v_add_f16_e32 v63, v67, v63
	v_fma_f16 v237, v92, s5, -v51
	v_add_f16_e32 v63, v237, v63
	v_mul_f16_e32 v237, 0xbbf7, v105
	v_fma_f16 v246, v94, s14, -v237
	v_add_f16_e32 v63, v246, v63
	v_mul_f16_e32 v246, 0x3a62, v112
	buffer_store_dword v44, off, s[48:51], 0 offset:24 ; 4-byte Folded Spill
	v_fma_f16 v44, v97, s19, -v246
	v_add_f16_e32 v44, v44, v63
	v_mul_f16_e32 v63, 0xb5c8, v119
	v_fma_f16 v186, v102, s25, -v63
	v_add_f16_e32 v44, v186, v44
	v_mul_f16_e32 v186, 0xb1e1, v128
	;; [unrolled: 3-line block ×5, first 2 shown]
	buffer_store_dword v44, off, s[48:51], 0 offset:28 ; 4-byte Folded Spill
	v_fma_f16 v44, v98, s21, v210
	v_mul_f16_e32 v194, 0x35c8, v93
	v_add_f16_e32 v44, v68, v44
	v_fma_f16 v218, v103, s25, v194
	v_add_f16_e32 v44, v218, v44
	v_mul_f16_e32 v218, 0xb836, v96
	v_fma_f16 v203, v110, s22, v218
	v_add_f16_e32 v44, v203, v44
	v_mul_f16_e32 v203, 0x3964, v100
	;; [unrolled: 3-line block ×7, first 2 shown]
	v_fma_f16 v211, v89, s21, -v53
	buffer_store_dword v41, off, s[48:51], 0 offset:36 ; 4-byte Folded Spill
	v_mul_f16_e32 v41, 0x35c8, v99
	v_add_f16_e32 v211, v67, v211
	v_fma_f16 v196, v92, s25, -v41
	v_add_f16_e32 v196, v196, v211
	v_mul_f16_e32 v211, 0xb836, v105
	v_fma_f16 v219, v94, s22, -v211
	v_add_f16_e32 v196, v219, v196
	v_mul_f16_e32 v219, 0x3964, v112
	buffer_store_dword v44, off, s[48:51], 0 offset:32 ; 4-byte Folded Spill
	v_fma_f16 v44, v97, s4, -v219
	v_add_f16_e32 v44, v44, v196
	v_mul_f16_e32 v196, 0xba62, v119
	v_fma_f16 v53, v89, s21, v53
	v_fma_f16 v204, v102, s19, -v196
	v_add_f16_e32 v53, v67, v53
	v_fma_f16 v41, v92, s25, v41
	v_add_f16_e32 v44, v204, v44
	v_mul_f16_e32 v204, 0x3b29, v128
	v_add_f16_e32 v41, v41, v53
	v_fma_f16 v211, v94, s22, v211
	v_fma_f16 v227, v107, s5, -v204
	v_add_f16_e32 v41, v211, v41
	v_fma_f16 v219, v97, s4, v219
	v_add_f16_e32 v44, v227, v44
	v_mul_f16_e32 v227, 0xbbb2, v138
	v_add_f16_e32 v41, v219, v41
	;; [unrolled: 7-line block ×3, first 2 shown]
	v_fma_f16 v227, v115, s16, v227
	v_fma_f16 v212, v123, s14, -v189
	v_add_f16_e32 v41, v227, v41
	v_fma_f16 v189, v123, s14, v189
	v_add_f16_e32 v41, v189, v41
	v_fma_f16 v189, v98, s22, -v254
	v_add_f16_e32 v189, v68, v189
	v_fma_f16 v45, v103, s5, -v45
	;; [unrolled: 2-line block ×8, first 2 shown]
	v_add_f16_e32 v45, v48, v45
	v_fma_f16 v48, v89, s22, v62
	v_add_f16_e32 v48, v67, v48
	v_fma_f16 v49, v92, s5, v51
	;; [unrolled: 2-line block ×8, first 2 shown]
	v_add_f16_e32 v48, v49, v48
	v_fma_f16 v49, v98, s19, -v236
	v_add_f16_e32 v49, v68, v49
	v_fma_f16 v51, v103, s16, -v238
	;; [unrolled: 2-line block ×8, first 2 shown]
	v_add_f16_e32 v49, v51, v49
	v_fma_f16 v51, v89, s19, v245
	v_add_f16_e32 v51, v67, v51
	v_fma_f16 v59, v92, s16, v247
	;; [unrolled: 2-line block ×7, first 2 shown]
	v_mul_f16_e32 v199, 0xbbb2, v91
	v_fma_f16 v210, v98, s21, -v210
	v_add_f16_e32 v51, v59, v51
	v_fma_f16 v59, v123, s5, v253
	v_mul_f16_e32 v201, 0x3836, v93
	v_add_f16_e32 v210, v68, v210
	v_fma_f16 v194, v103, s25, -v194
	v_add_f16_e32 v51, v59, v51
	v_sub_f16_e32 v59, v140, v199
	v_mul_f16_e32 v209, 0x3964, v96
	v_add_f16_e32 v194, v194, v210
	v_fma_f16 v218, v110, s22, -v218
	v_add_f16_e32 v59, v68, v59
	v_sub_f16_e32 v60, v151, v201
	;; [unrolled: 5-line block ×5, first 2 shown]
	v_add_f16_e32 v194, v195, v194
	v_mul_f16_e32 v195, 0xb5c8, v120
	v_add_f16_e32 v59, v60, v59
	v_sub_f16_e32 v60, v180, v197
	v_mul_f16_e32 v227, 0xba62, v130
	v_add_f16_e32 v59, v60, v59
	v_sub_f16_e32 v60, v183, v195
	;; [unrolled: 3-line block ×3, first 2 shown]
	v_mul_f16_e32 v200, 0xbacd, v92
	v_add_f16_e32 v59, v60, v59
	v_add_f16_e32 v60, v205, v133
	v_mul_f16_e32 v208, 0x39e9, v94
	v_add_f16_e32 v60, v67, v60
	v_add_f16_e32 v61, v200, v146
	;; [unrolled: 3-line block ×8, first 2 shown]
	v_mul_f16_e32 v206, 0xb1e1, v93
	v_add_f16_e32 v60, v61, v60
	v_sub_f16_e32 v61, v126, v213
	v_mul_f16_e32 v207, 0x3bb2, v96
	v_add_f16_e32 v61, v68, v61
	v_sub_f16_e32 v62, v137, v206
	;; [unrolled: 3-line block ×7, first 2 shown]
	v_add_f16_e32 v61, v62, v61
	v_sub_f16_e32 v62, v182, v196
	v_add_f16_e32 v61, v62, v61
	v_mul_f16_e32 v62, 0x2de8, v89
	v_mul_f16_e32 v228, 0xbbdd, v92
	v_add_f16_e32 v62, v62, v121
	v_mul_f16_e32 v220, 0xb461, v94
	v_add_f16_e32 v62, v67, v62
	v_add_f16_e32 v63, v228, v132
	v_mul_f16_e32 v214, 0x3b76, v97
	v_add_f16_e32 v62, v63, v62
	;; [unrolled: 3-line block ×6, first 2 shown]
	v_add_f16_e32 v63, v218, v175
	v_add_f16_e32 v62, v63, v62
	;; [unrolled: 1-line block ×4, first 2 shown]
	v_mul_f16_e32 v63, 0xbb29, v91
	v_sub_f16_e32 v63, v114, v63
	v_mul_f16_e32 v114, 0xba62, v93
	v_add_f16_e32 v63, v68, v63
	v_sub_f16_e32 v114, v124, v114
	v_add_f16_e32 v63, v114, v63
	v_mul_f16_e32 v114, 0x31e1, v96
	v_sub_f16_e32 v114, v134, v114
	v_add_f16_e32 v63, v114, v63
	v_mul_f16_e32 v114, 0x3bb2, v100
	v_mul_f16_e32 v221, 0x3964, v106
	v_sub_f16_e32 v114, v144, v114
	v_mul_f16_e32 v229, 0xb5c8, v113
	v_add_f16_e32 v63, v114, v63
	v_sub_f16_e32 v114, v153, v221
	v_mul_f16_e32 v210, 0xbbf7, v120
	v_add_f16_e32 v63, v114, v63
	v_sub_f16_e32 v114, v162, v229
	v_mul_f16_e32 v211, 0xb836, v130
	v_add_f16_e32 v63, v114, v63
	v_sub_f16_e32 v114, v170, v210
	v_add_f16_e32 v63, v114, v63
	v_sub_f16_e32 v114, v176, v211
	v_add_f16_e32 v63, v114, v63
	v_mul_f16_e32 v114, 0x3722, v89
	v_add_f16_e32 v109, v114, v109
	v_mul_f16_e32 v114, 0xb8d2, v92
	v_add_f16_e32 v109, v67, v109
	v_add_f16_e32 v114, v114, v118
	;; [unrolled: 1-line block ×3, first 2 shown]
	v_mul_f16_e32 v114, 0xbbdd, v94
	v_add_f16_e32 v114, v114, v129
	v_add_f16_e32 v109, v114, v109
	v_mul_f16_e32 v114, 0xb461, v97
	v_add_f16_e32 v114, v114, v139
	v_add_f16_e32 v109, v114, v109
	;; [unrolled: 3-line block ×3, first 2 shown]
	v_mul_f16_e32 v114, 0x3b76, v107
	v_add_f16_e32 v44, v212, v44
	v_mul_f16_e32 v212, 0x2de8, v115
	v_add_f16_e32 v114, v114, v157
	;; [unrolled: 2-line block ×3, first 2 shown]
	v_add_f16_e32 v114, v212, v166
	v_add_f16_e32 v109, v114, v109
	;; [unrolled: 1-line block ×4, first 2 shown]
	v_mul_f16_e32 v109, 0xb964, v91
	v_sub_f16_e32 v104, v104, v109
	v_mul_f16_e32 v109, 0xbbf7, v93
	v_add_f16_e32 v104, v68, v104
	v_sub_f16_e32 v109, v111, v109
	v_add_f16_e32 v104, v109, v104
	v_mul_f16_e32 v109, 0xba62, v96
	v_sub_f16_e32 v109, v122, v109
	v_add_f16_e32 v104, v109, v104
	v_mul_f16_e32 v109, 0xb1e1, v100
	;; [unrolled: 3-line block ×4, first 2 shown]
	v_fma_f16 v52, v145, s16, -v52
	v_sub_f16_e32 v109, v150, v109
	v_add_f16_e32 v52, v52, v194
	v_fma_f16 v188, v155, s14, -v188
	v_add_f16_e32 v104, v109, v104
	v_mul_f16_e32 v109, 0x3b29, v120
	v_add_f16_e32 v52, v188, v52
	v_mul_f16_e32 v188, 0x35c8, v130
	v_sub_f16_e32 v109, v159, v109
	v_add_f16_e32 v104, v109, v104
	v_sub_f16_e32 v109, v167, v188
	v_add_f16_e32 v104, v109, v104
	v_mul_f16_e32 v109, 0x39e9, v89
	v_add_f16_e32 v101, v109, v101
	v_mul_f16_e32 v109, 0x2de8, v92
	v_add_f16_e32 v101, v67, v101
	v_add_f16_e32 v108, v109, v108
	;; [unrolled: 1-line block ×3, first 2 shown]
	v_mul_f16_e32 v108, 0xb8d2, v94
	v_add_f16_e32 v108, v108, v116
	v_add_f16_e32 v101, v108, v101
	v_mul_f16_e32 v108, 0xbbdd, v97
	v_add_f16_e32 v108, v108, v125
	v_add_f16_e32 v101, v108, v101
	;; [unrolled: 3-line block ×4, first 2 shown]
	v_add_f16_e32 v29, v30, v29
	v_add_f16_e32 v101, v108, v101
	v_mul_f16_e32 v108, 0x3722, v115
	v_add_f16_e32 v29, v31, v29
	v_mul_f16_e32 v194, 0x3b76, v123
	v_add_f16_e32 v108, v108, v154
	v_add_f16_e32 v29, v32, v29
	v_add_f16_e32 v101, v108, v101
	v_add_f16_e32 v108, v194, v163
	v_mul_f16_e32 v98, 0x3b76, v98
	v_add_f16_e32 v29, v33, v29
	v_add_f16_e32 v101, v108, v101
	v_fma_f16 v108, v91, s33, v98
	v_mul_f16_e32 v103, 0x39e9, v103
	v_add_f16_e32 v29, v34, v29
	v_add_f16_e32 v108, v68, v108
	v_fma_f16 v109, v93, s31, v103
	v_add_f16_e32 v29, v35, v29
	v_add_f16_e32 v108, v109, v108
	v_mul_f16_e32 v109, 0x3722, v110
	v_add_f16_e32 v29, v36, v29
	v_fma_f16 v110, v96, s35, v109
	v_add_f16_e32 v29, v37, v29
	v_add_f16_e32 v108, v110, v108
	v_mul_f16_e32 v110, 0x2de8, v117
	;; [unrolled: 5-line block ×4, first 2 shown]
	v_add_f16_e32 v27, v28, v27
	v_fma_f16 v116, v113, s36, v114
	v_add_f16_e32 v21, v21, v27
	v_fma_f16 v27, v91, s30, v98
	v_add_f16_e32 v108, v116, v108
	v_mul_f16_e32 v116, 0xbacd, v145
	v_add_f16_e32 v27, v68, v27
	v_fma_f16 v28, v93, s15, v103
	v_fma_f16 v117, v120, s26, v116
	v_add_f16_e32 v27, v28, v27
	v_fma_f16 v28, v96, s17, v109
	v_add_f16_e32 v108, v117, v108
	v_mul_f16_e32 v117, 0xbbdd, v155
	v_add_f16_e32 v27, v28, v27
	v_fma_f16 v28, v100, s18, v110
	v_fma_f16 v118, v130, s27, v117
	v_mul_f16_e32 v95, 0xb5c8, v95
	v_add_f16_e32 v27, v28, v27
	v_fma_f16 v28, v106, s20, v111
	v_add_f16_e32 v108, v118, v108
	v_fma_f16 v118, v89, s25, v95
	v_mul_f16_e32 v99, 0xb964, v99
	v_add_f16_e32 v27, v28, v27
	v_fma_f16 v28, v113, s23, v114
	v_add_f16_e32 v118, v67, v118
	v_fma_f16 v121, v92, s4, v99
	v_mul_f16_e32 v105, 0xbb29, v105
	v_add_f16_e32 v27, v28, v27
	v_fma_f16 v28, v120, s29, v116
	v_add_f16_e32 v118, v121, v118
	v_fma_f16 v121, v94, s5, v105
	v_mul_f16_e32 v112, 0xbbf7, v112
	v_add_f16_e32 v27, v28, v27
	v_fma_f16 v28, v130, s24, v117
	v_add_f16_e32 v118, v121, v118
	v_fma_f16 v121, v97, s14, v112
	v_mul_f16_e32 v119, 0xbbb2, v119
	v_add_f16_e32 v27, v28, v27
	v_fma_f16 v28, v89, s25, -v95
	v_add_f16_e32 v118, v121, v118
	v_fma_f16 v121, v102, s16, v119
	v_add_f16_e32 v28, v67, v28
	v_fma_f16 v29, v92, s4, -v99
	v_add_f16_e32 v118, v121, v118
	v_mul_f16_e32 v121, 0xba62, v128
	v_add_f16_e32 v28, v29, v28
	v_fma_f16 v29, v94, s5, -v105
	v_fma_f16 v122, v107, s19, v121
	v_add_f16_e32 v28, v29, v28
	v_fma_f16 v29, v97, s14, -v112
	v_add_f16_e32 v118, v122, v118
	v_mul_f16_e32 v122, 0xb836, v138
	v_add_f16_e32 v28, v29, v28
	v_fma_f16 v29, v102, s16, -v119
	;; [unrolled: 7-line block ×3, first 2 shown]
	v_add_f16_e32 v28, v29, v28
	v_fma_f16 v29, v123, s21, -v124
	v_add_f16_e32 v28, v29, v28
	buffer_load_dword v29, off, s[48:51], 0 offset:36 ; 4-byte Folded Reload
	v_add_f16_e32 v21, v22, v21
	v_add_f16_e32 v22, v69, v68
	;; [unrolled: 1-line block ×15, first 2 shown]
	v_fma_f16 v125, v123, s21, v124
	v_add_f16_e32 v22, v66, v22
	v_add_f16_e32 v118, v125, v118
	;; [unrolled: 1-line block ×3, first 2 shown]
	v_pack_b32_f16 v30, v118, v108
	v_pack_b32_f16 v21, v21, v22
	;; [unrolled: 1-line block ×3, first 2 shown]
	s_mov_b32 s4, 0x5040100
	s_waitcnt vmcnt(0)
	v_lshl_add_u32 v29, v29, 2, v232
	ds_write2_b32 v29, v21, v30 offset1:1
	v_pack_b32_f16 v21, v53, v63
	ds_write2_b32 v29, v22, v21 offset0:2 offset1:3
	v_pack_b32_f16 v21, v60, v59
	v_pack_b32_f16 v22, v62, v61
	buffer_load_dword v63, off, s[48:51], 0 offset:12 ; 4-byte Folded Reload
	buffer_load_dword v60, off, s[48:51], 0 offset:4 ; 4-byte Folded Reload
	;; [unrolled: 1-line block ×3, first 2 shown]
	buffer_load_dword v62, off, s[48:51], 0 ; 4-byte Folded Reload
	ds_write2_b32 v29, v22, v21 offset0:4 offset1:5
	v_pack_b32_f16 v21, v48, v45
	v_pack_b32_f16 v22, v51, v49
	ds_write2_b32 v29, v22, v21 offset0:6 offset1:7
	buffer_load_dword v21, off, s[48:51], 0 offset:32 ; 4-byte Folded Reload
	v_pack_b32_f16 v22, v41, v52
	s_waitcnt vmcnt(0)
	v_pack_b32_f16 v21, v44, v21
	ds_write2_b32 v29, v22, v21 offset0:8 offset1:9
	buffer_load_dword v21, off, s[48:51], 0 offset:16 ; 4-byte Folded Reload
	buffer_load_dword v22, off, s[48:51], 0 offset:20 ; 4-byte Folded Reload
	s_waitcnt vmcnt(0)
	v_pack_b32_f16 v21, v22, v21
	buffer_load_dword v22, off, s[48:51], 0 offset:24 ; 4-byte Folded Reload
	buffer_load_dword v30, off, s[48:51], 0 offset:28 ; 4-byte Folded Reload
	s_waitcnt vmcnt(0)
	v_pack_b32_f16 v22, v30, v22
	ds_write2_b32 v29, v22, v21 offset0:10 offset1:11
	v_perm_b32 v21, v90, v84, s4
	v_perm_b32 v22, v87, v83, s4
	ds_write2_b32 v29, v22, v21 offset0:12 offset1:13
	v_perm_b32 v21, v85, v82, s4
	v_perm_b32 v22, v88, v86, s4
	ds_write2_b32 v29, v22, v21 offset0:14 offset1:15
	v_pack_b32_f16 v21, v28, v27
	ds_write_b32 v29, v21 offset:64
.LBB0_17:
	s_or_b64 exec, exec, s[2:3]
	v_add_u32_e32 v29, 0x600, v46
	v_add_u32_e32 v31, 0x400, v46
	s_waitcnt lgkmcnt(0)
	s_barrier
	ds_read2_b32 v[27:28], v46 offset1:68
	ds_read2_b32 v[21:22], v46 offset0:136 offset1:238
	ds_read2_b32 v[35:36], v29 offset0:92 offset1:160
	v_add_u32_e32 v29, 0x800, v46
	ds_read2_b32 v[33:34], v31 offset0:50 offset1:118
	v_add_u32_e32 v31, 0xc00, v46
	ds_read2_b32 v[29:30], v29 offset0:100 offset1:202
	ds_read2_b32 v[31:32], v31 offset0:14 offset1:82
	s_and_saveexec_b64 s[2:3], s[0:1]
	s_cbranch_execz .LBB0_19
; %bb.18:
	ds_read_b32 v83, v46 offset:816
	ds_read_b32 v84, v46 offset:1768
	;; [unrolled: 1-line block ×4, first 2 shown]
	s_waitcnt lgkmcnt(3)
	v_lshrrev_b32_e32 v87, 16, v83
	s_waitcnt lgkmcnt(2)
	v_lshrrev_b32_e32 v90, 16, v84
	;; [unrolled: 2-line block ×4, first 2 shown]
.LBB0_19:
	s_or_b64 exec, exec, s[2:3]
	s_waitcnt lgkmcnt(4)
	v_lshrrev_b32_e32 v39, 16, v22
	v_mul_f16_sdwa v59, v17, v39 dst_sel:DWORD dst_unused:UNUSED_PAD src0_sel:WORD_1 src1_sel:DWORD
	s_waitcnt lgkmcnt(3)
	v_lshrrev_b32_e32 v40, 16, v35
	v_fma_f16 v59, v17, v22, v59
	v_mul_f16_sdwa v22, v17, v22 dst_sel:DWORD dst_unused:UNUSED_PAD src0_sel:WORD_1 src1_sel:DWORD
	v_fma_f16 v17, v17, v39, -v22
	v_mul_f16_sdwa v22, v18, v40 dst_sel:DWORD dst_unused:UNUSED_PAD src0_sel:WORD_1 src1_sel:DWORD
	s_waitcnt lgkmcnt(1)
	v_lshrrev_b32_e32 v41, 16, v30
	v_fma_f16 v22, v18, v35, v22
	v_mul_f16_sdwa v35, v18, v35 dst_sel:DWORD dst_unused:UNUSED_PAD src0_sel:WORD_1 src1_sel:DWORD
	v_fma_f16 v18, v18, v40, -v35
	v_mul_f16_sdwa v35, v19, v41 dst_sel:DWORD dst_unused:UNUSED_PAD src0_sel:WORD_1 src1_sel:DWORD
	v_lshrrev_b32_e32 v45, 16, v33
	v_fma_f16 v35, v19, v30, v35
	v_mul_f16_sdwa v30, v19, v30 dst_sel:DWORD dst_unused:UNUSED_PAD src0_sel:WORD_1 src1_sel:DWORD
	v_fma_f16 v19, v19, v41, -v30
	v_mul_f16_sdwa v30, v14, v45 dst_sel:DWORD dst_unused:UNUSED_PAD src0_sel:WORD_1 src1_sel:DWORD
	;; [unrolled: 5-line block ×3, first 2 shown]
	s_waitcnt lgkmcnt(0)
	v_lshrrev_b32_e32 v48, 16, v31
	v_fma_f16 v33, v15, v36, v33
	v_mul_f16_sdwa v36, v15, v36 dst_sel:DWORD dst_unused:UNUSED_PAD src0_sel:WORD_1 src1_sel:DWORD
	v_fma_f16 v15, v15, v47, -v36
	v_mul_f16_sdwa v36, v16, v48 dst_sel:DWORD dst_unused:UNUSED_PAD src0_sel:WORD_1 src1_sel:DWORD
	v_lshrrev_b32_e32 v51, 16, v34
	v_fma_f16 v36, v16, v31, v36
	v_mul_f16_sdwa v31, v16, v31 dst_sel:DWORD dst_unused:UNUSED_PAD src0_sel:WORD_1 src1_sel:DWORD
	v_fma_f16 v16, v16, v48, -v31
	v_mul_f16_sdwa v31, v11, v51 dst_sel:DWORD dst_unused:UNUSED_PAD src0_sel:WORD_1 src1_sel:DWORD
	;; [unrolled: 5-line block ×3, first 2 shown]
	v_lshrrev_b32_e32 v53, 16, v32
	v_fma_f16 v34, v12, v29, v34
	v_mul_f16_sdwa v29, v12, v29 dst_sel:DWORD dst_unused:UNUSED_PAD src0_sel:WORD_1 src1_sel:DWORD
	v_lshrrev_b32_e32 v38, 16, v27
	v_fma_f16 v12, v12, v52, -v29
	v_mul_f16_sdwa v29, v13, v53 dst_sel:DWORD dst_unused:UNUSED_PAD src0_sel:WORD_1 src1_sel:DWORD
	v_fma_f16 v29, v13, v32, v29
	v_mul_f16_sdwa v32, v13, v32 dst_sel:DWORD dst_unused:UNUSED_PAD src0_sel:WORD_1 src1_sel:DWORD
	v_sub_f16_e32 v22, v27, v22
	v_sub_f16_e32 v18, v38, v18
	;; [unrolled: 1-line block ×4, first 2 shown]
	v_lshrrev_b32_e32 v44, 16, v28
	v_fma_f16 v13, v13, v53, -v32
	v_fma_f16 v27, v27, 2.0, -v22
	v_fma_f16 v32, v38, 2.0, -v18
	;; [unrolled: 1-line block ×4, first 2 shown]
	v_sub_f16_e32 v38, v27, v38
	v_sub_f16_e32 v17, v32, v17
	v_add_f16_e32 v19, v22, v19
	v_sub_f16_e32 v35, v18, v35
	v_sub_f16_e32 v33, v28, v33
	;; [unrolled: 1-line block ×5, first 2 shown]
	v_lshrrev_b32_e32 v49, 16, v21
	v_fma_f16 v27, v27, 2.0, -v38
	v_fma_f16 v32, v32, 2.0, -v17
	;; [unrolled: 1-line block ×8, first 2 shown]
	v_sub_f16_e32 v30, v28, v30
	v_sub_f16_e32 v14, v39, v14
	v_add_f16_e32 v16, v33, v16
	v_sub_f16_e32 v36, v15, v36
	v_sub_f16_e32 v34, v21, v34
	;; [unrolled: 1-line block ×5, first 2 shown]
	v_pack_b32_f16 v27, v27, v32
	v_pack_b32_f16 v18, v22, v18
	v_fma_f16 v28, v28, 2.0, -v30
	v_fma_f16 v39, v39, 2.0, -v14
	;; [unrolled: 1-line block ×8, first 2 shown]
	s_barrier
	ds_write2_b32 v190, v27, v18 offset1:17
	v_pack_b32_f16 v17, v38, v17
	v_pack_b32_f16 v18, v19, v35
	v_sub_f16_e32 v31, v21, v31
	v_sub_f16_e32 v11, v40, v11
	v_add_f16_e32 v13, v34, v13
	v_sub_f16_e32 v29, v12, v29
	ds_write2_b32 v190, v17, v18 offset0:34 offset1:51
	v_pack_b32_f16 v17, v28, v39
	v_pack_b32_f16 v15, v33, v15
	v_fma_f16 v21, v21, 2.0, -v31
	v_fma_f16 v40, v40, 2.0, -v11
	;; [unrolled: 1-line block ×4, first 2 shown]
	ds_write2_b32 v191, v17, v15 offset1:17
	v_pack_b32_f16 v14, v30, v14
	v_pack_b32_f16 v15, v16, v36
	ds_write2_b32 v191, v14, v15 offset0:34 offset1:51
	v_pack_b32_f16 v14, v21, v40
	v_pack_b32_f16 v12, v34, v12
	v_add_u32_e32 v37, 0x110, v43
	ds_write2_b32 v192, v14, v12 offset1:17
	v_pack_b32_f16 v11, v31, v11
	v_pack_b32_f16 v12, v13, v29
	ds_write2_b32 v192, v11, v12 offset0:34 offset1:51
	s_and_saveexec_b64 s[2:3], s[0:1]
	s_cbranch_execz .LBB0_21
; %bb.20:
	v_mul_f16_sdwa v11, v9, v88 dst_sel:DWORD dst_unused:UNUSED_PAD src0_sel:WORD_1 src1_sel:DWORD
	v_mul_f16_sdwa v16, v9, v86 dst_sel:DWORD dst_unused:UNUSED_PAD src0_sel:WORD_1 src1_sel:DWORD
	v_fma_f16 v11, v9, v86, v11
	v_mul_f16_sdwa v12, v8, v84 dst_sel:DWORD dst_unused:UNUSED_PAD src0_sel:WORD_1 src1_sel:DWORD
	v_mul_f16_sdwa v13, v10, v82 dst_sel:DWORD dst_unused:UNUSED_PAD src0_sel:WORD_1 src1_sel:DWORD
	v_fma_f16 v9, v9, v88, -v16
	v_mul_f16_sdwa v16, v8, v90 dst_sel:DWORD dst_unused:UNUSED_PAD src0_sel:WORD_1 src1_sel:DWORD
	v_fma_f16 v12, v8, v90, -v12
	v_fma_f16 v13, v10, v85, -v13
	v_fma_f16 v8, v8, v84, v16
	v_mul_f16_sdwa v16, v10, v85 dst_sel:DWORD dst_unused:UNUSED_PAD src0_sel:WORD_1 src1_sel:DWORD
	v_sub_f16_e32 v11, v83, v11
	v_sub_f16_e32 v13, v12, v13
	v_fma_f16 v10, v10, v82, v16
	v_add_f16_e32 v14, v11, v13
	v_sub_f16_e32 v10, v8, v10
	v_fma_f16 v15, v11, 2.0, -v14
	v_sub_f16_e32 v9, v87, v9
	v_fma_f16 v11, v83, 2.0, -v11
	v_fma_f16 v8, v8, 2.0, -v10
	v_sub_f16_e32 v16, v9, v10
	v_sub_f16_e32 v8, v11, v8
	v_fma_f16 v17, v9, 2.0, -v16
	v_fma_f16 v10, v11, 2.0, -v8
	;; [unrolled: 1-line block ×4, first 2 shown]
	v_sub_f16_e32 v11, v9, v11
	s_movk_i32 s0, 0x44
	v_fma_f16 v9, v9, 2.0, -v11
	v_mad_legacy_u16 v12, v234, s0, v235
	v_lshl_add_u32 v12, v12, 2, v232
	v_pack_b32_f16 v9, v10, v9
	v_pack_b32_f16 v10, v15, v17
	ds_write2_b32 v12, v9, v10 offset1:17
	v_pack_b32_f16 v8, v8, v11
	v_pack_b32_f16 v9, v14, v16
	ds_write2_b32 v12, v8, v9 offset0:34 offset1:51
.LBB0_21:
	s_or_b64 exec, exec, s[2:3]
	v_add_u32_e32 v21, 0x600, v46
	s_waitcnt lgkmcnt(0)
	s_barrier
	ds_read2_b32 v[10:11], v21 offset0:92 offset1:160
	ds_read2_b32 v[8:9], v46 offset1:68
	ds_read_b32 v28, v46 offset:544
	ds_read_b32 v29, v46 offset:2448
	v_add_u32_e32 v36, 0x800, v46
	ds_read2_b32 v[14:15], v36 offset0:168 offset1:236
	s_waitcnt lgkmcnt(4)
	v_lshrrev_b32_e32 v27, 16, v10
	v_mul_f16_sdwa v51, v50, v27 dst_sel:DWORD dst_unused:UNUSED_PAD src0_sel:WORD_1 src1_sel:DWORD
	v_lshrrev_b32_e32 v32, 16, v11
	v_fma_f16 v51, v50, v10, v51
	v_mul_f16_sdwa v10, v50, v10 dst_sel:DWORD dst_unused:UNUSED_PAD src0_sel:WORD_1 src1_sel:DWORD
	v_fma_f16 v10, v50, v27, -v10
	v_mul_f16_sdwa v27, v50, v32 dst_sel:DWORD dst_unused:UNUSED_PAD src0_sel:WORD_1 src1_sel:DWORD
	s_waitcnt lgkmcnt(1)
	v_lshrrev_b32_e32 v34, 16, v29
	v_add_u32_e32 v39, 0xc00, v46
	v_fma_f16 v27, v50, v11, v27
	v_mul_f16_sdwa v11, v50, v11 dst_sel:DWORD dst_unused:UNUSED_PAD src0_sel:WORD_1 src1_sel:DWORD
	ds_read2_b32 v[18:19], v39 offset0:48 offset1:116
	v_fma_f16 v11, v50, v32, -v11
	v_mul_f16_sdwa v32, v57, v34 dst_sel:DWORD dst_unused:UNUSED_PAD src0_sel:WORD_1 src1_sel:DWORD
	s_waitcnt lgkmcnt(1)
	v_lshrrev_b32_e32 v40, 16, v14
	v_fma_f16 v32, v57, v29, v32
	v_mul_f16_sdwa v29, v57, v29 dst_sel:DWORD dst_unused:UNUSED_PAD src0_sel:WORD_1 src1_sel:DWORD
	v_fma_f16 v29, v57, v34, -v29
	v_mul_f16_sdwa v34, v56, v40 dst_sel:DWORD dst_unused:UNUSED_PAD src0_sel:WORD_1 src1_sel:DWORD
	v_lshrrev_b32_e32 v44, 16, v15
	v_fma_f16 v34, v56, v14, v34
	v_mul_f16_sdwa v14, v56, v14 dst_sel:DWORD dst_unused:UNUSED_PAD src0_sel:WORD_1 src1_sel:DWORD
	v_fma_f16 v14, v56, v40, -v14
	v_mul_f16_sdwa v40, v55, v44 dst_sel:DWORD dst_unused:UNUSED_PAD src0_sel:WORD_1 src1_sel:DWORD
	s_waitcnt lgkmcnt(0)
	v_lshrrev_b32_e32 v47, 16, v18
	v_fma_f16 v40, v55, v15, v40
	v_mul_f16_sdwa v15, v55, v15 dst_sel:DWORD dst_unused:UNUSED_PAD src0_sel:WORD_1 src1_sel:DWORD
	v_add_u32_e32 v30, 0x200, v46
	v_fma_f16 v15, v55, v44, -v15
	v_mul_f16_sdwa v44, v54, v47 dst_sel:DWORD dst_unused:UNUSED_PAD src0_sel:WORD_1 src1_sel:DWORD
	ds_read2_b32 v[12:13], v30 offset0:76 offset1:144
	v_lshrrev_b32_e32 v49, 16, v19
	v_fma_f16 v44, v54, v18, v44
	v_mul_f16_sdwa v18, v54, v18 dst_sel:DWORD dst_unused:UNUSED_PAD src0_sel:WORD_1 src1_sel:DWORD
	v_add_u32_e32 v38, 0x400, v46
	v_fma_f16 v18, v54, v47, -v18
	v_mul_f16_sdwa v47, v58, v49 dst_sel:DWORD dst_unused:UNUSED_PAD src0_sel:WORD_1 src1_sel:DWORD
	v_lshrrev_b32_e32 v22, 16, v8
	ds_read2_b32 v[16:17], v38 offset0:84 offset1:152
	v_fma_f16 v47, v58, v19, v47
	v_mul_f16_sdwa v19, v58, v19 dst_sel:DWORD dst_unused:UNUSED_PAD src0_sel:WORD_1 src1_sel:DWORD
	v_lshrrev_b32_e32 v31, 16, v9
	v_fma_f16 v19, v58, v49, -v19
	v_sub_f16_e32 v49, v8, v51
	v_sub_f16_e32 v10, v22, v10
	v_lshrrev_b32_e32 v33, 16, v28
	v_fma_f16 v8, v8, 2.0, -v49
	v_fma_f16 v22, v22, 2.0, -v10
	v_sub_f16_e32 v27, v9, v27
	v_sub_f16_e32 v11, v31, v11
	s_waitcnt lgkmcnt(1)
	v_lshrrev_b32_e32 v35, 16, v12
	v_fma_f16 v9, v9, 2.0, -v27
	v_fma_f16 v31, v31, 2.0, -v11
	v_sub_f16_e32 v32, v28, v32
	v_sub_f16_e32 v29, v33, v29
	v_pack_b32_f16 v8, v8, v22
	v_pack_b32_f16 v10, v49, v10
	v_lshrrev_b32_e32 v41, 16, v13
	v_fma_f16 v28, v28, 2.0, -v32
	v_fma_f16 v33, v33, 2.0, -v29
	v_sub_f16_e32 v34, v12, v34
	v_sub_f16_e32 v14, v35, v14
	s_waitcnt lgkmcnt(0)
	s_barrier
	ds_write2_b32 v46, v8, v10 offset1:68
	v_pack_b32_f16 v8, v9, v31
	v_pack_b32_f16 v9, v27, v11
	v_lshrrev_b32_e32 v45, 16, v16
	v_fma_f16 v12, v12, 2.0, -v34
	v_fma_f16 v35, v35, 2.0, -v14
	v_sub_f16_e32 v40, v13, v40
	v_sub_f16_e32 v15, v41, v15
	ds_write2_b32 v46, v8, v9 offset0:136 offset1:204
	v_pack_b32_f16 v8, v28, v33
	v_pack_b32_f16 v9, v32, v29
	v_add_u32_e32 v10, 0x400, v62
	v_lshrrev_b32_e32 v48, 16, v17
	v_fma_f16 v13, v13, 2.0, -v40
	v_fma_f16 v41, v41, 2.0, -v15
	v_sub_f16_e32 v44, v16, v44
	v_sub_f16_e32 v18, v45, v18
	ds_write2_b32 v10, v8, v9 offset0:16 offset1:84
	v_pack_b32_f16 v8, v12, v35
	v_pack_b32_f16 v9, v34, v14
	v_add_u32_e32 v10, 0x400, v60
	v_fma_f16 v16, v16, 2.0, -v44
	v_fma_f16 v45, v45, 2.0, -v18
	v_sub_f16_e32 v47, v17, v47
	v_sub_f16_e32 v19, v48, v19
	ds_write2_b32 v10, v8, v9 offset0:152 offset1:220
	v_pack_b32_f16 v8, v13, v41
	v_pack_b32_f16 v9, v40, v15
	v_add_u32_e32 v10, 0x800, v61
	v_fma_f16 v17, v17, 2.0, -v47
	v_fma_f16 v48, v48, 2.0, -v19
	ds_write2_b32 v10, v8, v9 offset0:32 offset1:100
	v_pack_b32_f16 v8, v16, v45
	v_pack_b32_f16 v9, v44, v18
	v_add_u32_e32 v10, 0x800, v63
	ds_write2_b32 v10, v8, v9 offset0:168 offset1:236
	v_pack_b32_f16 v8, v17, v48
	v_pack_b32_f16 v9, v47, v19
	v_add_u32_e32 v10, 0xc00, v193
	ds_write2_b32 v10, v8, v9 offset0:48 offset1:116
	s_waitcnt lgkmcnt(0)
	s_barrier
	ds_read_b32 v22, v46 offset:544
	ds_read2_b32 v[8:9], v46 offset1:68
	ds_read_b32 v27, v46 offset:2448
	ds_read2_b32 v[10:11], v30 offset0:76 offset1:144
	ds_read2_b32 v[12:13], v38 offset0:84 offset1:152
	;; [unrolled: 1-line block ×5, first 2 shown]
	s_waitcnt lgkmcnt(4)
	v_lshrrev_b32_e32 v21, 16, v11
	v_lshrrev_b32_e32 v28, 16, v22
	v_mul_f16_sdwa v40, v0, v28 dst_sel:DWORD dst_unused:UNUSED_PAD src0_sel:WORD_1 src1_sel:DWORD
	v_fma_f16 v40, v0, v22, v40
	v_mul_f16_sdwa v22, v0, v22 dst_sel:DWORD dst_unused:UNUSED_PAD src0_sel:WORD_1 src1_sel:DWORD
	v_fma_f16 v0, v0, v28, -v22
	v_mul_f16_sdwa v22, v1, v21 dst_sel:DWORD dst_unused:UNUSED_PAD src0_sel:WORD_1 src1_sel:DWORD
	s_waitcnt lgkmcnt(3)
	v_lshrrev_b32_e32 v29, 16, v13
	v_fma_f16 v22, v1, v11, v22
	v_mul_f16_sdwa v11, v1, v11 dst_sel:DWORD dst_unused:UNUSED_PAD src0_sel:WORD_1 src1_sel:DWORD
	v_fma_f16 v1, v1, v21, -v11
	v_mul_f16_sdwa v11, v2, v29 dst_sel:DWORD dst_unused:UNUSED_PAD src0_sel:WORD_1 src1_sel:DWORD
	s_waitcnt lgkmcnt(2)
	v_lshrrev_b32_e32 v30, 16, v15
	v_fma_f16 v11, v2, v13, v11
	v_mul_f16_sdwa v13, v2, v13 dst_sel:DWORD dst_unused:UNUSED_PAD src0_sel:WORD_1 src1_sel:DWORD
	v_fma_f16 v2, v2, v29, -v13
	v_mul_f16_sdwa v13, v3, v30 dst_sel:DWORD dst_unused:UNUSED_PAD src0_sel:WORD_1 src1_sel:DWORD
	s_waitcnt lgkmcnt(1)
	v_lshrrev_b32_e32 v31, 16, v16
	v_fma_f16 v13, v3, v15, v13
	v_mul_f16_sdwa v15, v3, v15 dst_sel:DWORD dst_unused:UNUSED_PAD src0_sel:WORD_1 src1_sel:DWORD
	v_fma_f16 v3, v3, v30, -v15
	v_mul_f16_sdwa v15, v23, v31 dst_sel:DWORD dst_unused:UNUSED_PAD src0_sel:WORD_1 src1_sel:DWORD
	v_lshrrev_b32_e32 v33, 16, v10
	v_fma_f16 v15, v23, v16, v15
	v_mul_f16_sdwa v16, v23, v16 dst_sel:DWORD dst_unused:UNUSED_PAD src0_sel:WORD_1 src1_sel:DWORD
	v_fma_f16 v16, v23, v31, -v16
	v_mul_f16_sdwa v23, v4, v33 dst_sel:DWORD dst_unused:UNUSED_PAD src0_sel:WORD_1 src1_sel:DWORD
	v_lshrrev_b32_e32 v34, 16, v12
	v_fma_f16 v23, v4, v10, v23
	v_mul_f16_sdwa v10, v4, v10 dst_sel:DWORD dst_unused:UNUSED_PAD src0_sel:WORD_1 src1_sel:DWORD
	v_fma_f16 v4, v4, v33, -v10
	v_mul_f16_sdwa v10, v5, v34 dst_sel:DWORD dst_unused:UNUSED_PAD src0_sel:WORD_1 src1_sel:DWORD
	s_waitcnt lgkmcnt(0)
	v_lshrrev_b32_e32 v32, 16, v18
	v_lshrrev_b32_e32 v35, 16, v14
	v_fma_f16 v10, v5, v12, v10
	v_mul_f16_sdwa v12, v5, v12 dst_sel:DWORD dst_unused:UNUSED_PAD src0_sel:WORD_1 src1_sel:DWORD
	v_mul_f16_sdwa v21, v24, v32 dst_sel:DWORD dst_unused:UNUSED_PAD src0_sel:WORD_1 src1_sel:DWORD
	v_fma_f16 v5, v5, v34, -v12
	v_mul_f16_sdwa v12, v6, v35 dst_sel:DWORD dst_unused:UNUSED_PAD src0_sel:WORD_1 src1_sel:DWORD
	v_lshrrev_b32_e32 v36, 16, v27
	v_fma_f16 v21, v24, v18, v21
	v_mul_f16_sdwa v18, v24, v18 dst_sel:DWORD dst_unused:UNUSED_PAD src0_sel:WORD_1 src1_sel:DWORD
	v_fma_f16 v12, v6, v14, v12
	v_mul_f16_sdwa v14, v6, v14 dst_sel:DWORD dst_unused:UNUSED_PAD src0_sel:WORD_1 src1_sel:DWORD
	v_lshrrev_b32_e32 v38, 16, v17
	v_fma_f16 v18, v24, v32, -v18
	v_fma_f16 v6, v6, v35, -v14
	v_mul_f16_sdwa v14, v7, v36 dst_sel:DWORD dst_unused:UNUSED_PAD src0_sel:WORD_1 src1_sel:DWORD
	v_mul_f16_sdwa v24, v7, v27 dst_sel:DWORD dst_unused:UNUSED_PAD src0_sel:WORD_1 src1_sel:DWORD
	v_fma_f16 v14, v7, v27, v14
	v_fma_f16 v7, v7, v36, -v24
	v_mul_f16_sdwa v24, v25, v38 dst_sel:DWORD dst_unused:UNUSED_PAD src0_sel:WORD_1 src1_sel:DWORD
	v_lshrrev_b32_e32 v39, 16, v19
	v_fma_f16 v24, v25, v17, v24
	v_mul_f16_sdwa v17, v25, v17 dst_sel:DWORD dst_unused:UNUSED_PAD src0_sel:WORD_1 src1_sel:DWORD
	v_fma_f16 v17, v25, v38, -v17
	v_mul_f16_sdwa v25, v26, v39 dst_sel:DWORD dst_unused:UNUSED_PAD src0_sel:WORD_1 src1_sel:DWORD
	v_fma_f16 v25, v26, v19, v25
	v_mul_f16_sdwa v19, v26, v19 dst_sel:DWORD dst_unused:UNUSED_PAD src0_sel:WORD_1 src1_sel:DWORD
	v_fma_f16 v19, v26, v39, -v19
	v_add_f16_e32 v26, v40, v21
	v_add_f16_e32 v27, v0, v18
	v_sub_f16_e32 v0, v0, v18
	v_add_f16_e32 v18, v22, v15
	v_add_f16_e32 v28, v1, v16
	v_sub_f16_e32 v21, v40, v21
	v_sub_f16_e32 v15, v22, v15
	;; [unrolled: 1-line block ×3, first 2 shown]
	v_add_f16_e32 v16, v11, v13
	v_add_f16_e32 v22, v2, v3
	v_sub_f16_e32 v11, v13, v11
	v_sub_f16_e32 v2, v3, v2
	v_add_f16_e32 v3, v18, v26
	v_add_f16_e32 v13, v28, v27
	v_sub_f16_e32 v29, v18, v26
	v_sub_f16_e32 v30, v28, v27
	;; [unrolled: 1-line block ×6, first 2 shown]
	v_add_f16_e32 v31, v11, v15
	v_add_f16_e32 v32, v2, v1
	v_sub_f16_e32 v33, v11, v15
	v_sub_f16_e32 v34, v2, v1
	;; [unrolled: 1-line block ×4, first 2 shown]
	v_add_f16_e32 v3, v16, v3
	v_add_f16_e32 v13, v22, v13
	v_sub_f16_e32 v11, v21, v11
	v_sub_f16_e32 v2, v0, v2
	v_add_f16_e32 v16, v31, v21
	v_add_f16_e32 v0, v32, v0
	v_add_f16_e32 v21, v8, v3
	v_add_f16_sdwa v8, v8, v13 dst_sel:DWORD dst_unused:UNUSED_PAD src0_sel:WORD_1 src1_sel:DWORD
	v_mul_f16_e32 v22, 0x3a52, v26
	v_mul_f16_e32 v26, 0x3a52, v27
	s_movk_i32 s0, 0x2b26
	v_mul_f16_e32 v27, 0x2b26, v18
	v_mul_f16_e32 v31, 0x2b26, v28
	;; [unrolled: 1-line block ×4, first 2 shown]
	s_mov_b32 s1, 0xbb00
	v_mul_f16_e32 v34, 0xbb00, v15
	v_mul_f16_e32 v35, 0xbb00, v1
	s_mov_b32 s2, 0xbcab
	s_movk_i32 s3, 0x39e0
	s_mov_b32 s4, 0xb9e0
	s_mov_b32 s5, 0xb574
	s_movk_i32 s14, 0x3574
	v_fma_f16 v3, v3, s2, v21
	v_fma_f16 v13, v13, s2, v8
	;; [unrolled: 1-line block ×4, first 2 shown]
	v_fma_f16 v27, v29, s3, -v27
	v_fma_f16 v31, v30, s3, -v31
	;; [unrolled: 1-line block ×4, first 2 shown]
	v_fma_f16 v29, v11, s5, v32
	v_fma_f16 v30, v2, s5, v33
	v_fma_f16 v1, v1, s1, -v33
	v_fma_f16 v11, v11, s14, -v34
	v_fma_f16 v2, v2, s14, -v35
	s_mov_b32 s15, 0xb70e
	v_fma_f16 v15, v15, s1, -v32
	v_add_f16_e32 v18, v18, v3
	v_add_f16_e32 v28, v28, v13
	;; [unrolled: 1-line block ×6, first 2 shown]
	v_fma_f16 v22, v16, s15, v29
	v_fma_f16 v26, v0, s15, v30
	;; [unrolled: 1-line block ×6, first 2 shown]
	v_add_f16_e32 v2, v26, v18
	v_sub_f16_e32 v16, v28, v22
	v_add_f16_e32 v29, v0, v3
	v_sub_f16_e32 v30, v13, v11
	v_sub_f16_e32 v0, v3, v0
	v_add_f16_e32 v3, v11, v13
	v_sub_f16_e32 v11, v18, v26
	v_add_f16_e32 v13, v22, v28
	v_add_f16_e32 v18, v23, v25
	;; [unrolled: 1-line block ×3, first 2 shown]
	v_sub_f16_e32 v23, v23, v25
	v_sub_f16_e32 v4, v4, v19
	v_add_f16_e32 v19, v10, v24
	v_add_f16_e32 v25, v5, v17
	v_sub_f16_e32 v10, v10, v24
	v_sub_f16_e32 v5, v5, v17
	v_add_f16_e32 v17, v12, v14
	v_add_f16_e32 v24, v6, v7
	;; [unrolled: 4-line block ×3, first 2 shown]
	v_sub_f16_e32 v32, v27, v1
	v_add_f16_e32 v33, v15, v31
	v_add_f16_e32 v1, v1, v27
	v_sub_f16_e32 v15, v31, v15
	v_sub_f16_e32 v26, v19, v18
	;; [unrolled: 1-line block ×7, first 2 shown]
	v_add_f16_e32 v28, v12, v10
	v_add_f16_e32 v31, v6, v5
	v_sub_f16_e32 v34, v12, v10
	v_sub_f16_e32 v35, v6, v5
	;; [unrolled: 1-line block ×3, first 2 shown]
	v_add_f16_e32 v7, v17, v7
	v_add_f16_e32 v14, v24, v14
	v_sub_f16_e32 v12, v23, v12
	v_sub_f16_e32 v6, v4, v6
	;; [unrolled: 1-line block ×3, first 2 shown]
	v_add_f16_e32 v17, v28, v23
	v_add_f16_e32 v4, v31, v4
	;; [unrolled: 1-line block ×3, first 2 shown]
	v_add_f16_sdwa v9, v9, v14 dst_sel:DWORD dst_unused:UNUSED_PAD src0_sel:WORD_1 src1_sel:DWORD
	v_mul_f16_e32 v18, 0x3a52, v18
	v_mul_f16_e32 v22, 0x3a52, v22
	;; [unrolled: 1-line block ×7, first 2 shown]
	v_fma_f16 v7, v7, s2, v23
	v_fma_f16 v14, v14, s2, v9
	;; [unrolled: 1-line block ×4, first 2 shown]
	v_fma_f16 v24, v26, s3, -v24
	v_fma_f16 v28, v27, s3, -v28
	;; [unrolled: 1-line block ×4, first 2 shown]
	v_fma_f16 v27, v6, s5, v34
	v_fma_f16 v5, v5, s1, -v34
	v_fma_f16 v6, v6, s14, -v36
	v_mul_f16_e32 v35, 0xbb00, v10
	v_fma_f16 v26, v12, s5, v31
	v_add_f16_e32 v19, v19, v7
	v_add_f16_e32 v25, v25, v14
	;; [unrolled: 1-line block ×6, first 2 shown]
	v_fma_f16 v22, v4, s15, v27
	v_fma_f16 v5, v4, s15, v5
	;; [unrolled: 1-line block ×3, first 2 shown]
	v_fma_f16 v12, v12, s14, -v35
	v_fma_f16 v18, v17, s15, v26
	v_add_f16_e32 v26, v4, v7
	v_sub_f16_e32 v7, v7, v4
	v_pack_b32_f16 v4, v21, v8
	v_pack_b32_f16 v1, v1, v15
	v_pack_b32_f16 v0, v0, v3
	v_add_u32_e32 v3, 0x800, v43
	v_fma_f16 v10, v10, s1, -v31
	v_fma_f16 v12, v17, s15, v12
	ds_write_b32 v64, v4
	ds_write2_b32 v3, v1, v0 offset0:32 offset1:168
	v_pack_b32_f16 v0, v11, v13
	v_fma_f16 v10, v17, s15, v10
	v_add_f16_e32 v6, v22, v19
	v_sub_f16_e32 v17, v25, v18
	v_sub_f16_e32 v27, v14, v12
	v_pack_b32_f16 v2, v2, v16
	ds_write_b32 v43, v0 offset:3264
	v_pack_b32_f16 v0, v23, v9
	v_sub_f16_e32 v31, v24, v5
	v_add_f16_e32 v34, v10, v28
	v_add_f16_e32 v5, v5, v24
	v_sub_f16_e32 v10, v28, v10
	ds_write2_b32 v43, v0, v2 offset0:68 offset1:136
	v_pack_b32_f16 v0, v6, v17
	v_pack_b32_f16 v1, v26, v27
	v_add_u32_e32 v2, 0x200, v37
	v_add_f16_e32 v12, v12, v14
	v_sub_f16_e32 v14, v19, v22
	v_add_f16_e32 v18, v18, v25
	ds_write2_b32 v2, v0, v1 offset0:8 offset1:144
	v_pack_b32_f16 v0, v31, v34
	v_pack_b32_f16 v1, v5, v10
	v_add_u32_e32 v2, 0x600, v37
	v_pack_b32_f16 v8, v29, v30
	v_pack_b32_f16 v16, v32, v33
	v_add_u32_e32 v4, 0x400, v43
	ds_write2_b32 v2, v0, v1 offset0:24 offset1:160
	v_pack_b32_f16 v0, v7, v12
	v_pack_b32_f16 v1, v14, v18
	v_add_u32_e32 v2, 0xa00, v37
	ds_write2_b32 v4, v8, v16 offset0:16 offset1:152
	ds_write2_b32 v2, v0, v1 offset0:40 offset1:176
	s_waitcnt lgkmcnt(0)
	s_barrier
	s_and_b64 exec, exec, vcc
	s_cbranch_execz .LBB0_23
; %bb.22:
	global_load_dword v10, v42, s[6:7]
	v_mad_u64_u32 v[1:2], s[0:1], s10, v20, 0
	v_mad_u64_u32 v[5:6], s[0:1], s8, v233, 0
	v_mad_u64_u32 v[7:8], s[0:1], s11, v20, v[2:3]
	ds_read_b32 v11, v64
	s_mov_b32 s14, 0x1135c811
	v_mad_u64_u32 v[8:9], s[0:1], s9, v233, v[6:7]
	v_mov_b32_e32 v2, v7
	s_waitcnt lgkmcnt(0)
	v_lshrrev_b32_e32 v9, 16, v11
	v_mov_b32_e32 v6, v8
	s_mov_b32 s15, 0x3f5135c8
	v_lshlrev_b64 v[1:2], 2, v[1:2]
	v_mov_b32_e32 v12, s13
	v_lshlrev_b64 v[5:6], 2, v[5:6]
	v_add_co_u32_e32 v1, vcc, s12, v1
	v_addc_co_u32_e32 v2, vcc, v12, v2, vcc
	s_movk_i32 s16, 0x1ff
	v_add_co_u32_e32 v5, vcc, v1, v5
	v_addc_co_u32_e32 v6, vcc, v2, v6, vcc
	s_movk_i32 s10, 0xffe
	v_mov_b32_e32 v0, 0x7c00
	s_movk_i32 s18, 0x40f
	s_mov_b32 s17, 0x8000
	s_mul_hi_u32 s12, s8, 0xe0
	s_mul_i32 s11, s8, 0xe0
	s_waitcnt vmcnt(0)
	v_mul_f16_sdwa v7, v9, v10 dst_sel:DWORD dst_unused:UNUSED_PAD src0_sel:DWORD src1_sel:WORD_1
	v_fma_f16 v7, v11, v10, v7
	v_mul_f16_sdwa v8, v11, v10 dst_sel:DWORD dst_unused:UNUSED_PAD src0_sel:DWORD src1_sel:WORD_1
	v_cvt_f32_f16_e32 v7, v7
	v_fma_f16 v8, v10, v9, -v8
	v_cvt_f32_f16_e32 v9, v8
	v_cvt_f64_f32_e32 v[7:8], v7
	v_cvt_f64_f32_e32 v[9:10], v9
	v_mul_f64 v[7:8], v[7:8], s[14:15]
	v_mul_f64 v[9:10], v[9:10], s[14:15]
	v_and_or_b32 v7, v8, s16, v7
	v_cmp_ne_u32_e32 vcc, 0, v7
	v_and_or_b32 v9, v10, s16, v9
	v_lshrrev_b32_e32 v11, 8, v8
	v_bfe_u32 v12, v8, 20, 11
	v_cndmask_b32_e64 v7, 0, 1, vcc
	v_cmp_ne_u32_e32 vcc, 0, v9
	v_lshrrev_b32_e32 v13, 8, v10
	v_bfe_u32 v14, v10, 20, 11
	v_sub_u32_e32 v15, 0x3f1, v12
	v_cndmask_b32_e64 v9, 0, 1, vcc
	v_and_or_b32 v7, v11, s10, v7
	v_sub_u32_e32 v16, 0x3f1, v14
	v_med3_i32 v11, v15, 0, 13
	v_and_or_b32 v9, v13, s10, v9
	v_or_b32_e32 v15, 0x1000, v7
	v_add_u32_e32 v12, 0xfffffc10, v12
	v_med3_i32 v13, v16, 0, 13
	v_cmp_ne_u32_e32 vcc, 0, v7
	v_or_b32_e32 v17, 0x1000, v9
	v_lshrrev_b32_e32 v19, v11, v15
	v_add_u32_e32 v14, 0xfffffc10, v14
	v_lshl_or_b32 v16, v12, 12, v7
	v_cndmask_b32_e64 v7, 0, 1, vcc
	v_cmp_ne_u32_e32 vcc, 0, v9
	v_lshrrev_b32_e32 v20, v13, v17
	v_lshlrev_b32_e32 v11, v11, v19
	v_lshl_or_b32 v18, v14, 12, v9
	v_cndmask_b32_e64 v9, 0, 1, vcc
	v_lshlrev_b32_e32 v13, v13, v20
	v_cmp_ne_u32_e32 vcc, v11, v15
	v_cndmask_b32_e64 v11, 0, 1, vcc
	v_cmp_ne_u32_e32 vcc, v13, v17
	v_cndmask_b32_e64 v13, 0, 1, vcc
	v_or_b32_e32 v11, v19, v11
	v_cmp_gt_i32_e32 vcc, 1, v12
	v_cndmask_b32_e32 v11, v16, v11, vcc
	v_or_b32_e32 v13, v20, v13
	v_cmp_gt_i32_e32 vcc, 1, v14
	v_and_b32_e32 v15, 7, v11
	v_cndmask_b32_e32 v13, v18, v13, vcc
	v_cmp_lt_i32_e32 vcc, 5, v15
	v_cmp_eq_u32_e64 s[0:1], 3, v15
	v_lshrrev_b32_e32 v11, 2, v11
	v_and_b32_e32 v16, 7, v13
	s_or_b64 vcc, s[0:1], vcc
	v_cmp_lt_i32_e64 s[2:3], 5, v16
	v_cmp_eq_u32_e64 s[4:5], 3, v16
	v_addc_co_u32_e32 v11, vcc, 0, v11, vcc
	v_lshrrev_b32_e32 v13, 2, v13
	s_or_b64 vcc, s[4:5], s[2:3]
	v_addc_co_u32_e32 v13, vcc, 0, v13, vcc
	v_cmp_gt_i32_e32 vcc, 31, v12
	v_cndmask_b32_e32 v11, v0, v11, vcc
	v_cmp_gt_i32_e32 vcc, 31, v14
	v_lshl_or_b32 v7, v7, 9, v0
	v_cndmask_b32_e32 v13, v0, v13, vcc
	v_cmp_eq_u32_e32 vcc, s18, v12
	v_lshrrev_b32_e32 v8, 16, v8
	v_lshl_or_b32 v9, v9, 9, v0
	v_cndmask_b32_e32 v7, v11, v7, vcc
	v_cmp_eq_u32_e32 vcc, s18, v14
	v_lshrrev_b32_e32 v10, 16, v10
	v_cndmask_b32_e32 v9, v13, v9, vcc
	v_and_or_b32 v7, v8, s17, v7
	v_and_or_b32 v8, v10, s17, v9
	v_and_b32_e32 v7, 0xffff, v7
	v_lshl_or_b32 v7, v8, 16, v7
	global_store_dword v[5:6], v7, off
	global_load_dword v9, v42, s[6:7] offset:224
	ds_read2_b32 v[7:8], v43 offset0:56 offset1:112
	s_mul_i32 s0, s9, 0xe0
	s_add_i32 s12, s12, s0
	v_add_co_u32_e32 v5, vcc, s11, v5
	s_waitcnt lgkmcnt(0)
	v_lshrrev_b32_e32 v10, 16, v7
	s_waitcnt vmcnt(0)
	v_mul_f16_sdwa v11, v10, v9 dst_sel:DWORD dst_unused:UNUSED_PAD src0_sel:DWORD src1_sel:WORD_1
	v_fma_f16 v11, v7, v9, v11
	v_mul_f16_sdwa v7, v7, v9 dst_sel:DWORD dst_unused:UNUSED_PAD src0_sel:DWORD src1_sel:WORD_1
	v_cvt_f32_f16_e32 v11, v11
	v_fma_f16 v7, v9, v10, -v7
	v_cvt_f32_f16_e32 v7, v7
	v_cvt_f64_f32_e32 v[9:10], v11
	v_cvt_f64_f32_e32 v[11:12], v7
	v_mov_b32_e32 v7, s12
	v_mul_f64 v[9:10], v[9:10], s[14:15]
	v_addc_co_u32_e32 v6, vcc, v6, v7, vcc
	v_mul_f64 v[11:12], v[11:12], s[14:15]
	v_and_or_b32 v7, v10, s16, v9
	v_cmp_ne_u32_e32 vcc, 0, v7
	v_lshrrev_b32_e32 v9, 8, v10
	v_and_or_b32 v11, v12, s16, v11
	v_bfe_u32 v13, v10, 20, 11
	v_cndmask_b32_e64 v7, 0, 1, vcc
	v_cmp_ne_u32_e32 vcc, 0, v11
	v_lshrrev_b32_e32 v14, 8, v12
	v_bfe_u32 v15, v12, 20, 11
	v_sub_u32_e32 v16, 0x3f1, v13
	v_cndmask_b32_e64 v11, 0, 1, vcc
	v_and_or_b32 v7, v9, s10, v7
	v_sub_u32_e32 v17, 0x3f1, v15
	v_med3_i32 v9, v16, 0, 13
	v_and_or_b32 v11, v14, s10, v11
	v_or_b32_e32 v16, 0x1000, v7
	v_add_u32_e32 v13, 0xfffffc10, v13
	v_med3_i32 v14, v17, 0, 13
	v_cmp_ne_u32_e32 vcc, 0, v7
	v_or_b32_e32 v18, 0x1000, v11
	v_lshrrev_b32_e32 v20, v9, v16
	v_add_u32_e32 v15, 0xfffffc10, v15
	v_lshl_or_b32 v17, v13, 12, v7
	v_cndmask_b32_e64 v7, 0, 1, vcc
	v_cmp_ne_u32_e32 vcc, 0, v11
	v_lshrrev_b32_e32 v21, v14, v18
	v_lshlrev_b32_e32 v9, v9, v20
	v_lshl_or_b32 v19, v15, 12, v11
	v_cndmask_b32_e64 v11, 0, 1, vcc
	v_lshlrev_b32_e32 v14, v14, v21
	v_cmp_ne_u32_e32 vcc, v9, v16
	v_cndmask_b32_e64 v9, 0, 1, vcc
	v_cmp_ne_u32_e32 vcc, v14, v18
	v_cndmask_b32_e64 v14, 0, 1, vcc
	v_or_b32_e32 v9, v20, v9
	v_cmp_gt_i32_e32 vcc, 1, v13
	v_cndmask_b32_e32 v9, v17, v9, vcc
	v_or_b32_e32 v14, v21, v14
	v_cmp_gt_i32_e32 vcc, 1, v15
	v_and_b32_e32 v16, 7, v9
	v_cndmask_b32_e32 v14, v19, v14, vcc
	v_cmp_lt_i32_e32 vcc, 5, v16
	v_cmp_eq_u32_e64 s[0:1], 3, v16
	v_lshrrev_b32_e32 v9, 2, v9
	v_and_b32_e32 v17, 7, v14
	s_or_b64 vcc, s[0:1], vcc
	v_cmp_lt_i32_e64 s[2:3], 5, v17
	v_cmp_eq_u32_e64 s[4:5], 3, v17
	v_addc_co_u32_e32 v9, vcc, 0, v9, vcc
	v_lshrrev_b32_e32 v14, 2, v14
	s_or_b64 vcc, s[4:5], s[2:3]
	v_addc_co_u32_e32 v14, vcc, 0, v14, vcc
	v_cmp_gt_i32_e32 vcc, 31, v13
	v_cndmask_b32_e32 v9, v0, v9, vcc
	v_cmp_gt_i32_e32 vcc, 31, v15
	v_lshl_or_b32 v7, v7, 9, v0
	v_cndmask_b32_e32 v14, v0, v14, vcc
	v_cmp_eq_u32_e32 vcc, s18, v13
	v_lshrrev_b32_e32 v10, 16, v10
	v_lshl_or_b32 v11, v11, 9, v0
	v_cndmask_b32_e32 v7, v9, v7, vcc
	v_cmp_eq_u32_e32 vcc, s18, v15
	v_lshrrev_b32_e32 v12, 16, v12
	v_cndmask_b32_e32 v9, v14, v11, vcc
	v_and_or_b32 v7, v10, s17, v7
	v_and_or_b32 v9, v12, s17, v9
	v_and_b32_e32 v7, 0xffff, v7
	v_lshl_or_b32 v7, v9, 16, v7
	global_store_dword v[5:6], v7, off
	global_load_dword v7, v42, s[6:7] offset:448
	v_lshrrev_b32_e32 v9, 16, v8
	v_mov_b32_e32 v11, s12
	v_add_co_u32_e32 v5, vcc, s11, v5
	v_addc_co_u32_e32 v6, vcc, v6, v11, vcc
	s_waitcnt vmcnt(0)
	v_mul_f16_sdwa v10, v9, v7 dst_sel:DWORD dst_unused:UNUSED_PAD src0_sel:DWORD src1_sel:WORD_1
	v_fma_f16 v10, v8, v7, v10
	v_mul_f16_sdwa v8, v8, v7 dst_sel:DWORD dst_unused:UNUSED_PAD src0_sel:DWORD src1_sel:WORD_1
	v_cvt_f32_f16_e32 v10, v10
	v_fma_f16 v7, v7, v9, -v8
	v_cvt_f32_f16_e32 v9, v7
	v_cvt_f64_f32_e32 v[7:8], v10
	v_cvt_f64_f32_e32 v[9:10], v9
	v_mul_f64 v[7:8], v[7:8], s[14:15]
	v_mul_f64 v[9:10], v[9:10], s[14:15]
	v_and_or_b32 v7, v8, s16, v7
	v_cmp_ne_u32_e32 vcc, 0, v7
	v_and_or_b32 v9, v10, s16, v9
	v_lshrrev_b32_e32 v11, 8, v8
	v_bfe_u32 v12, v8, 20, 11
	v_cndmask_b32_e64 v7, 0, 1, vcc
	v_cmp_ne_u32_e32 vcc, 0, v9
	v_lshrrev_b32_e32 v13, 8, v10
	v_bfe_u32 v14, v10, 20, 11
	v_sub_u32_e32 v15, 0x3f1, v12
	v_cndmask_b32_e64 v9, 0, 1, vcc
	v_and_or_b32 v7, v11, s10, v7
	v_sub_u32_e32 v16, 0x3f1, v14
	v_med3_i32 v11, v15, 0, 13
	v_and_or_b32 v9, v13, s10, v9
	v_or_b32_e32 v15, 0x1000, v7
	v_add_u32_e32 v12, 0xfffffc10, v12
	v_med3_i32 v13, v16, 0, 13
	v_cmp_ne_u32_e32 vcc, 0, v7
	v_or_b32_e32 v17, 0x1000, v9
	v_lshrrev_b32_e32 v19, v11, v15
	v_add_u32_e32 v14, 0xfffffc10, v14
	v_lshl_or_b32 v16, v12, 12, v7
	v_cndmask_b32_e64 v7, 0, 1, vcc
	v_cmp_ne_u32_e32 vcc, 0, v9
	v_lshrrev_b32_e32 v20, v13, v17
	v_lshlrev_b32_e32 v11, v11, v19
	v_lshl_or_b32 v18, v14, 12, v9
	v_cndmask_b32_e64 v9, 0, 1, vcc
	v_lshlrev_b32_e32 v13, v13, v20
	v_cmp_ne_u32_e32 vcc, v11, v15
	v_cndmask_b32_e64 v11, 0, 1, vcc
	v_cmp_ne_u32_e32 vcc, v13, v17
	v_cndmask_b32_e64 v13, 0, 1, vcc
	v_or_b32_e32 v11, v19, v11
	v_cmp_gt_i32_e32 vcc, 1, v12
	v_cndmask_b32_e32 v11, v16, v11, vcc
	v_or_b32_e32 v13, v20, v13
	v_cmp_gt_i32_e32 vcc, 1, v14
	v_and_b32_e32 v15, 7, v11
	v_cndmask_b32_e32 v13, v18, v13, vcc
	v_cmp_lt_i32_e32 vcc, 5, v15
	v_cmp_eq_u32_e64 s[0:1], 3, v15
	v_lshrrev_b32_e32 v11, 2, v11
	v_and_b32_e32 v16, 7, v13
	s_or_b64 vcc, s[0:1], vcc
	v_cmp_lt_i32_e64 s[2:3], 5, v16
	v_cmp_eq_u32_e64 s[4:5], 3, v16
	v_addc_co_u32_e32 v11, vcc, 0, v11, vcc
	v_lshrrev_b32_e32 v13, 2, v13
	s_or_b64 vcc, s[4:5], s[2:3]
	v_addc_co_u32_e32 v13, vcc, 0, v13, vcc
	v_cmp_gt_i32_e32 vcc, 31, v12
	v_cndmask_b32_e32 v11, v0, v11, vcc
	v_cmp_gt_i32_e32 vcc, 31, v14
	v_lshl_or_b32 v7, v7, 9, v0
	v_cndmask_b32_e32 v13, v0, v13, vcc
	v_cmp_eq_u32_e32 vcc, s18, v12
	v_lshrrev_b32_e32 v8, 16, v8
	v_lshl_or_b32 v9, v9, 9, v0
	v_cndmask_b32_e32 v7, v11, v7, vcc
	v_cmp_eq_u32_e32 vcc, s18, v14
	v_lshrrev_b32_e32 v10, 16, v10
	v_cndmask_b32_e32 v9, v13, v9, vcc
	v_and_or_b32 v7, v8, s17, v7
	v_and_or_b32 v8, v10, s17, v9
	v_and_b32_e32 v7, 0xffff, v7
	v_lshl_or_b32 v7, v8, 16, v7
	global_store_dword v[5:6], v7, off
	global_load_dword v9, v42, s[6:7] offset:672
	ds_read2_b32 v[7:8], v43 offset0:168 offset1:224
	v_add_co_u32_e32 v5, vcc, s11, v5
	s_waitcnt lgkmcnt(0)
	v_lshrrev_b32_e32 v10, 16, v7
	s_waitcnt vmcnt(0)
	v_mul_f16_sdwa v11, v10, v9 dst_sel:DWORD dst_unused:UNUSED_PAD src0_sel:DWORD src1_sel:WORD_1
	v_fma_f16 v11, v7, v9, v11
	v_mul_f16_sdwa v7, v7, v9 dst_sel:DWORD dst_unused:UNUSED_PAD src0_sel:DWORD src1_sel:WORD_1
	v_cvt_f32_f16_e32 v11, v11
	v_fma_f16 v7, v9, v10, -v7
	v_cvt_f32_f16_e32 v7, v7
	v_cvt_f64_f32_e32 v[9:10], v11
	v_cvt_f64_f32_e32 v[11:12], v7
	v_mov_b32_e32 v7, s12
	v_mul_f64 v[9:10], v[9:10], s[14:15]
	v_addc_co_u32_e32 v6, vcc, v6, v7, vcc
	v_mul_f64 v[11:12], v[11:12], s[14:15]
	v_and_or_b32 v7, v10, s16, v9
	v_cmp_ne_u32_e32 vcc, 0, v7
	v_lshrrev_b32_e32 v9, 8, v10
	v_and_or_b32 v11, v12, s16, v11
	v_bfe_u32 v13, v10, 20, 11
	v_cndmask_b32_e64 v7, 0, 1, vcc
	v_cmp_ne_u32_e32 vcc, 0, v11
	v_lshrrev_b32_e32 v14, 8, v12
	v_bfe_u32 v15, v12, 20, 11
	v_sub_u32_e32 v16, 0x3f1, v13
	v_cndmask_b32_e64 v11, 0, 1, vcc
	v_and_or_b32 v7, v9, s10, v7
	v_sub_u32_e32 v17, 0x3f1, v15
	v_med3_i32 v9, v16, 0, 13
	v_and_or_b32 v11, v14, s10, v11
	v_or_b32_e32 v16, 0x1000, v7
	v_add_u32_e32 v13, 0xfffffc10, v13
	v_med3_i32 v14, v17, 0, 13
	v_cmp_ne_u32_e32 vcc, 0, v7
	v_or_b32_e32 v18, 0x1000, v11
	v_lshrrev_b32_e32 v20, v9, v16
	v_add_u32_e32 v15, 0xfffffc10, v15
	v_lshl_or_b32 v17, v13, 12, v7
	v_cndmask_b32_e64 v7, 0, 1, vcc
	v_cmp_ne_u32_e32 vcc, 0, v11
	v_lshrrev_b32_e32 v21, v14, v18
	v_lshlrev_b32_e32 v9, v9, v20
	v_lshl_or_b32 v19, v15, 12, v11
	v_cndmask_b32_e64 v11, 0, 1, vcc
	v_lshlrev_b32_e32 v14, v14, v21
	v_cmp_ne_u32_e32 vcc, v9, v16
	v_cndmask_b32_e64 v9, 0, 1, vcc
	v_cmp_ne_u32_e32 vcc, v14, v18
	v_cndmask_b32_e64 v14, 0, 1, vcc
	v_or_b32_e32 v9, v20, v9
	v_cmp_gt_i32_e32 vcc, 1, v13
	v_cndmask_b32_e32 v9, v17, v9, vcc
	v_or_b32_e32 v14, v21, v14
	v_cmp_gt_i32_e32 vcc, 1, v15
	v_and_b32_e32 v16, 7, v9
	v_cndmask_b32_e32 v14, v19, v14, vcc
	v_cmp_lt_i32_e32 vcc, 5, v16
	v_cmp_eq_u32_e64 s[0:1], 3, v16
	v_lshrrev_b32_e32 v9, 2, v9
	v_and_b32_e32 v17, 7, v14
	s_or_b64 vcc, s[0:1], vcc
	v_cmp_lt_i32_e64 s[2:3], 5, v17
	v_cmp_eq_u32_e64 s[4:5], 3, v17
	v_addc_co_u32_e32 v9, vcc, 0, v9, vcc
	v_lshrrev_b32_e32 v14, 2, v14
	s_or_b64 vcc, s[4:5], s[2:3]
	v_addc_co_u32_e32 v14, vcc, 0, v14, vcc
	v_cmp_gt_i32_e32 vcc, 31, v13
	v_cndmask_b32_e32 v9, v0, v9, vcc
	v_cmp_gt_i32_e32 vcc, 31, v15
	v_lshl_or_b32 v7, v7, 9, v0
	v_cndmask_b32_e32 v14, v0, v14, vcc
	v_cmp_eq_u32_e32 vcc, s18, v13
	v_lshrrev_b32_e32 v10, 16, v10
	v_lshl_or_b32 v11, v11, 9, v0
	v_cndmask_b32_e32 v7, v9, v7, vcc
	v_cmp_eq_u32_e32 vcc, s18, v15
	v_lshrrev_b32_e32 v12, 16, v12
	v_cndmask_b32_e32 v9, v14, v11, vcc
	v_and_or_b32 v7, v10, s17, v7
	v_and_or_b32 v9, v12, s17, v9
	v_and_b32_e32 v7, 0xffff, v7
	v_lshl_or_b32 v7, v9, 16, v7
	global_store_dword v[5:6], v7, off
	global_load_dword v7, v42, s[6:7] offset:896
	v_lshrrev_b32_e32 v9, 16, v8
	v_mov_b32_e32 v11, s12
	v_add_co_u32_e32 v5, vcc, s11, v5
	v_addc_co_u32_e32 v6, vcc, v6, v11, vcc
	s_waitcnt vmcnt(0)
	v_mul_f16_sdwa v10, v9, v7 dst_sel:DWORD dst_unused:UNUSED_PAD src0_sel:DWORD src1_sel:WORD_1
	v_fma_f16 v10, v8, v7, v10
	v_mul_f16_sdwa v8, v8, v7 dst_sel:DWORD dst_unused:UNUSED_PAD src0_sel:DWORD src1_sel:WORD_1
	v_cvt_f32_f16_e32 v10, v10
	v_fma_f16 v7, v7, v9, -v8
	v_cvt_f32_f16_e32 v9, v7
	v_cvt_f64_f32_e32 v[7:8], v10
	v_cvt_f64_f32_e32 v[9:10], v9
	v_mul_f64 v[7:8], v[7:8], s[14:15]
	v_mul_f64 v[9:10], v[9:10], s[14:15]
	v_and_or_b32 v7, v8, s16, v7
	v_cmp_ne_u32_e32 vcc, 0, v7
	v_and_or_b32 v9, v10, s16, v9
	v_lshrrev_b32_e32 v11, 8, v8
	v_bfe_u32 v12, v8, 20, 11
	v_cndmask_b32_e64 v7, 0, 1, vcc
	v_cmp_ne_u32_e32 vcc, 0, v9
	v_lshrrev_b32_e32 v13, 8, v10
	v_bfe_u32 v14, v10, 20, 11
	v_sub_u32_e32 v15, 0x3f1, v12
	v_cndmask_b32_e64 v9, 0, 1, vcc
	v_and_or_b32 v7, v11, s10, v7
	v_sub_u32_e32 v16, 0x3f1, v14
	v_med3_i32 v11, v15, 0, 13
	v_and_or_b32 v9, v13, s10, v9
	v_or_b32_e32 v15, 0x1000, v7
	v_add_u32_e32 v12, 0xfffffc10, v12
	v_med3_i32 v13, v16, 0, 13
	v_cmp_ne_u32_e32 vcc, 0, v7
	v_or_b32_e32 v17, 0x1000, v9
	v_lshrrev_b32_e32 v19, v11, v15
	v_add_u32_e32 v14, 0xfffffc10, v14
	v_lshl_or_b32 v16, v12, 12, v7
	v_cndmask_b32_e64 v7, 0, 1, vcc
	v_cmp_ne_u32_e32 vcc, 0, v9
	v_lshrrev_b32_e32 v20, v13, v17
	v_lshlrev_b32_e32 v11, v11, v19
	v_lshl_or_b32 v18, v14, 12, v9
	v_cndmask_b32_e64 v9, 0, 1, vcc
	v_lshlrev_b32_e32 v13, v13, v20
	v_cmp_ne_u32_e32 vcc, v11, v15
	v_cndmask_b32_e64 v11, 0, 1, vcc
	v_cmp_ne_u32_e32 vcc, v13, v17
	v_cndmask_b32_e64 v13, 0, 1, vcc
	v_or_b32_e32 v11, v19, v11
	v_cmp_gt_i32_e32 vcc, 1, v12
	v_cndmask_b32_e32 v11, v16, v11, vcc
	v_or_b32_e32 v13, v20, v13
	v_cmp_gt_i32_e32 vcc, 1, v14
	v_and_b32_e32 v15, 7, v11
	v_cndmask_b32_e32 v13, v18, v13, vcc
	v_cmp_lt_i32_e32 vcc, 5, v15
	v_cmp_eq_u32_e64 s[0:1], 3, v15
	v_lshrrev_b32_e32 v11, 2, v11
	v_and_b32_e32 v16, 7, v13
	s_or_b64 vcc, s[0:1], vcc
	v_cmp_lt_i32_e64 s[2:3], 5, v16
	v_cmp_eq_u32_e64 s[4:5], 3, v16
	v_addc_co_u32_e32 v11, vcc, 0, v11, vcc
	v_lshrrev_b32_e32 v13, 2, v13
	s_or_b64 vcc, s[4:5], s[2:3]
	v_addc_co_u32_e32 v13, vcc, 0, v13, vcc
	v_cmp_gt_i32_e32 vcc, 31, v12
	v_cndmask_b32_e32 v11, v0, v11, vcc
	v_cmp_gt_i32_e32 vcc, 31, v14
	v_lshl_or_b32 v7, v7, 9, v0
	v_cndmask_b32_e32 v13, v0, v13, vcc
	v_cmp_eq_u32_e32 vcc, s18, v12
	v_lshrrev_b32_e32 v8, 16, v8
	v_lshl_or_b32 v9, v9, 9, v0
	v_cndmask_b32_e32 v7, v11, v7, vcc
	v_cmp_eq_u32_e32 vcc, s18, v14
	v_lshrrev_b32_e32 v10, 16, v10
	v_cndmask_b32_e32 v9, v13, v9, vcc
	v_and_or_b32 v7, v8, s17, v7
	v_and_or_b32 v8, v10, s17, v9
	v_and_b32_e32 v7, 0xffff, v7
	v_lshl_or_b32 v7, v8, 16, v7
	global_store_dword v[5:6], v7, off
	global_load_dword v9, v42, s[6:7] offset:1120
	ds_read2_b32 v[7:8], v4 offset0:24 offset1:80
	v_add_co_u32_e32 v5, vcc, s11, v5
	s_waitcnt lgkmcnt(0)
	v_lshrrev_b32_e32 v10, 16, v7
	s_waitcnt vmcnt(0)
	v_mul_f16_sdwa v11, v10, v9 dst_sel:DWORD dst_unused:UNUSED_PAD src0_sel:DWORD src1_sel:WORD_1
	v_fma_f16 v11, v7, v9, v11
	v_mul_f16_sdwa v7, v7, v9 dst_sel:DWORD dst_unused:UNUSED_PAD src0_sel:DWORD src1_sel:WORD_1
	v_cvt_f32_f16_e32 v11, v11
	v_fma_f16 v7, v9, v10, -v7
	v_cvt_f32_f16_e32 v7, v7
	v_cvt_f64_f32_e32 v[9:10], v11
	v_cvt_f64_f32_e32 v[11:12], v7
	v_mov_b32_e32 v7, s12
	v_mul_f64 v[9:10], v[9:10], s[14:15]
	v_addc_co_u32_e32 v6, vcc, v6, v7, vcc
	v_mul_f64 v[11:12], v[11:12], s[14:15]
	v_and_or_b32 v7, v10, s16, v9
	v_cmp_ne_u32_e32 vcc, 0, v7
	v_lshrrev_b32_e32 v9, 8, v10
	v_and_or_b32 v11, v12, s16, v11
	v_bfe_u32 v13, v10, 20, 11
	v_cndmask_b32_e64 v7, 0, 1, vcc
	v_cmp_ne_u32_e32 vcc, 0, v11
	v_lshrrev_b32_e32 v14, 8, v12
	v_bfe_u32 v15, v12, 20, 11
	v_sub_u32_e32 v16, 0x3f1, v13
	v_cndmask_b32_e64 v11, 0, 1, vcc
	v_and_or_b32 v7, v9, s10, v7
	v_sub_u32_e32 v17, 0x3f1, v15
	v_med3_i32 v9, v16, 0, 13
	v_and_or_b32 v11, v14, s10, v11
	v_or_b32_e32 v16, 0x1000, v7
	v_add_u32_e32 v13, 0xfffffc10, v13
	v_med3_i32 v14, v17, 0, 13
	v_cmp_ne_u32_e32 vcc, 0, v7
	v_or_b32_e32 v18, 0x1000, v11
	v_lshrrev_b32_e32 v20, v9, v16
	v_add_u32_e32 v15, 0xfffffc10, v15
	v_lshl_or_b32 v17, v13, 12, v7
	v_cndmask_b32_e64 v7, 0, 1, vcc
	v_cmp_ne_u32_e32 vcc, 0, v11
	v_lshrrev_b32_e32 v21, v14, v18
	v_lshlrev_b32_e32 v9, v9, v20
	v_lshl_or_b32 v19, v15, 12, v11
	v_cndmask_b32_e64 v11, 0, 1, vcc
	v_lshlrev_b32_e32 v14, v14, v21
	v_cmp_ne_u32_e32 vcc, v9, v16
	v_cndmask_b32_e64 v9, 0, 1, vcc
	v_cmp_ne_u32_e32 vcc, v14, v18
	v_cndmask_b32_e64 v14, 0, 1, vcc
	v_or_b32_e32 v9, v20, v9
	v_cmp_gt_i32_e32 vcc, 1, v13
	v_cndmask_b32_e32 v9, v17, v9, vcc
	v_or_b32_e32 v14, v21, v14
	v_cmp_gt_i32_e32 vcc, 1, v15
	v_and_b32_e32 v16, 7, v9
	v_cndmask_b32_e32 v14, v19, v14, vcc
	v_cmp_lt_i32_e32 vcc, 5, v16
	v_cmp_eq_u32_e64 s[0:1], 3, v16
	v_lshrrev_b32_e32 v9, 2, v9
	v_and_b32_e32 v17, 7, v14
	s_or_b64 vcc, s[0:1], vcc
	v_cmp_lt_i32_e64 s[2:3], 5, v17
	v_cmp_eq_u32_e64 s[4:5], 3, v17
	v_addc_co_u32_e32 v9, vcc, 0, v9, vcc
	v_lshrrev_b32_e32 v14, 2, v14
	s_or_b64 vcc, s[4:5], s[2:3]
	v_addc_co_u32_e32 v14, vcc, 0, v14, vcc
	v_cmp_gt_i32_e32 vcc, 31, v13
	v_cndmask_b32_e32 v9, v0, v9, vcc
	v_cmp_gt_i32_e32 vcc, 31, v15
	v_lshl_or_b32 v7, v7, 9, v0
	v_cndmask_b32_e32 v14, v0, v14, vcc
	v_cmp_eq_u32_e32 vcc, s18, v13
	v_lshrrev_b32_e32 v10, 16, v10
	v_lshl_or_b32 v11, v11, 9, v0
	v_cndmask_b32_e32 v7, v9, v7, vcc
	v_cmp_eq_u32_e32 vcc, s18, v15
	v_lshrrev_b32_e32 v12, 16, v12
	v_cndmask_b32_e32 v9, v14, v11, vcc
	v_and_or_b32 v7, v10, s17, v7
	v_and_or_b32 v9, v12, s17, v9
	v_and_b32_e32 v7, 0xffff, v7
	v_lshl_or_b32 v7, v9, 16, v7
	global_store_dword v[5:6], v7, off
	global_load_dword v7, v42, s[6:7] offset:1344
	v_lshrrev_b32_e32 v9, 16, v8
	v_mov_b32_e32 v11, s12
	v_add_co_u32_e32 v5, vcc, s11, v5
	v_addc_co_u32_e32 v6, vcc, v6, v11, vcc
	s_waitcnt vmcnt(0)
	v_mul_f16_sdwa v10, v9, v7 dst_sel:DWORD dst_unused:UNUSED_PAD src0_sel:DWORD src1_sel:WORD_1
	v_fma_f16 v10, v8, v7, v10
	v_mul_f16_sdwa v8, v8, v7 dst_sel:DWORD dst_unused:UNUSED_PAD src0_sel:DWORD src1_sel:WORD_1
	v_cvt_f32_f16_e32 v10, v10
	v_fma_f16 v7, v7, v9, -v8
	v_cvt_f32_f16_e32 v9, v7
	v_cvt_f64_f32_e32 v[7:8], v10
	v_cvt_f64_f32_e32 v[9:10], v9
	v_mul_f64 v[7:8], v[7:8], s[14:15]
	v_mul_f64 v[9:10], v[9:10], s[14:15]
	v_and_or_b32 v7, v8, s16, v7
	v_cmp_ne_u32_e32 vcc, 0, v7
	v_and_or_b32 v9, v10, s16, v9
	v_lshrrev_b32_e32 v11, 8, v8
	v_bfe_u32 v12, v8, 20, 11
	v_cndmask_b32_e64 v7, 0, 1, vcc
	v_cmp_ne_u32_e32 vcc, 0, v9
	v_lshrrev_b32_e32 v13, 8, v10
	v_bfe_u32 v14, v10, 20, 11
	v_sub_u32_e32 v15, 0x3f1, v12
	v_cndmask_b32_e64 v9, 0, 1, vcc
	v_and_or_b32 v7, v11, s10, v7
	v_sub_u32_e32 v16, 0x3f1, v14
	v_med3_i32 v11, v15, 0, 13
	v_and_or_b32 v9, v13, s10, v9
	v_or_b32_e32 v15, 0x1000, v7
	v_add_u32_e32 v12, 0xfffffc10, v12
	v_med3_i32 v13, v16, 0, 13
	v_cmp_ne_u32_e32 vcc, 0, v7
	v_or_b32_e32 v17, 0x1000, v9
	v_lshrrev_b32_e32 v19, v11, v15
	v_add_u32_e32 v14, 0xfffffc10, v14
	v_lshl_or_b32 v16, v12, 12, v7
	v_cndmask_b32_e64 v7, 0, 1, vcc
	v_cmp_ne_u32_e32 vcc, 0, v9
	v_lshrrev_b32_e32 v20, v13, v17
	v_lshlrev_b32_e32 v11, v11, v19
	v_lshl_or_b32 v18, v14, 12, v9
	v_cndmask_b32_e64 v9, 0, 1, vcc
	v_lshlrev_b32_e32 v13, v13, v20
	v_cmp_ne_u32_e32 vcc, v11, v15
	v_cndmask_b32_e64 v11, 0, 1, vcc
	v_cmp_ne_u32_e32 vcc, v13, v17
	v_cndmask_b32_e64 v13, 0, 1, vcc
	v_or_b32_e32 v11, v19, v11
	v_cmp_gt_i32_e32 vcc, 1, v12
	v_cndmask_b32_e32 v11, v16, v11, vcc
	v_or_b32_e32 v13, v20, v13
	v_cmp_gt_i32_e32 vcc, 1, v14
	v_and_b32_e32 v15, 7, v11
	v_cndmask_b32_e32 v13, v18, v13, vcc
	v_cmp_lt_i32_e32 vcc, 5, v15
	v_cmp_eq_u32_e64 s[0:1], 3, v15
	v_lshrrev_b32_e32 v11, 2, v11
	v_and_b32_e32 v16, 7, v13
	s_or_b64 vcc, s[0:1], vcc
	v_cmp_lt_i32_e64 s[2:3], 5, v16
	v_cmp_eq_u32_e64 s[4:5], 3, v16
	v_addc_co_u32_e32 v11, vcc, 0, v11, vcc
	v_lshrrev_b32_e32 v13, 2, v13
	s_or_b64 vcc, s[4:5], s[2:3]
	v_addc_co_u32_e32 v13, vcc, 0, v13, vcc
	v_cmp_gt_i32_e32 vcc, 31, v12
	v_cndmask_b32_e32 v11, v0, v11, vcc
	v_cmp_gt_i32_e32 vcc, 31, v14
	v_lshl_or_b32 v7, v7, 9, v0
	v_cndmask_b32_e32 v13, v0, v13, vcc
	v_cmp_eq_u32_e32 vcc, s18, v12
	v_lshrrev_b32_e32 v8, 16, v8
	v_lshl_or_b32 v9, v9, 9, v0
	v_cndmask_b32_e32 v7, v11, v7, vcc
	v_cmp_eq_u32_e32 vcc, s18, v14
	v_lshrrev_b32_e32 v10, 16, v10
	v_cndmask_b32_e32 v9, v13, v9, vcc
	v_and_or_b32 v7, v8, s17, v7
	v_and_or_b32 v8, v10, s17, v9
	v_and_b32_e32 v7, 0xffff, v7
	v_lshl_or_b32 v7, v8, 16, v7
	global_store_dword v[5:6], v7, off
	global_load_dword v9, v42, s[6:7] offset:1568
	ds_read2_b32 v[7:8], v4 offset0:136 offset1:192
	s_waitcnt lgkmcnt(0)
	v_lshrrev_b32_e32 v4, 16, v7
	s_waitcnt vmcnt(0)
	v_mul_f16_sdwa v10, v4, v9 dst_sel:DWORD dst_unused:UNUSED_PAD src0_sel:DWORD src1_sel:WORD_1
	v_fma_f16 v10, v7, v9, v10
	v_mul_f16_sdwa v7, v7, v9 dst_sel:DWORD dst_unused:UNUSED_PAD src0_sel:DWORD src1_sel:WORD_1
	v_cvt_f32_f16_e32 v10, v10
	v_fma_f16 v4, v9, v4, -v7
	v_cvt_f32_f16_e32 v4, v4
	v_mov_b32_e32 v7, s12
	v_cvt_f64_f32_e32 v[9:10], v10
	v_cvt_f64_f32_e32 v[11:12], v4
	v_add_co_u32_e32 v4, vcc, s11, v5
	v_mul_f64 v[9:10], v[9:10], s[14:15]
	v_mul_f64 v[11:12], v[11:12], s[14:15]
	v_addc_co_u32_e32 v5, vcc, v6, v7, vcc
	v_and_or_b32 v6, v10, s16, v9
	v_and_or_b32 v11, v12, s16, v11
	v_cmp_ne_u32_e32 vcc, 0, v6
	v_lshrrev_b32_e32 v7, 8, v10
	v_bfe_u32 v9, v10, 20, 11
	v_cndmask_b32_e64 v6, 0, 1, vcc
	v_cmp_ne_u32_e32 vcc, 0, v11
	v_lshrrev_b32_e32 v13, 8, v12
	v_bfe_u32 v14, v12, 20, 11
	v_sub_u32_e32 v15, 0x3f1, v9
	v_cndmask_b32_e64 v11, 0, 1, vcc
	v_and_or_b32 v6, v7, s10, v6
	v_sub_u32_e32 v16, 0x3f1, v14
	v_med3_i32 v7, v15, 0, 13
	v_and_or_b32 v11, v13, s10, v11
	v_or_b32_e32 v15, 0x1000, v6
	v_add_u32_e32 v9, 0xfffffc10, v9
	v_med3_i32 v13, v16, 0, 13
	v_cmp_ne_u32_e32 vcc, 0, v6
	v_or_b32_e32 v17, 0x1000, v11
	v_lshrrev_b32_e32 v19, v7, v15
	v_add_u32_e32 v14, 0xfffffc10, v14
	v_lshl_or_b32 v16, v9, 12, v6
	v_cndmask_b32_e64 v6, 0, 1, vcc
	v_cmp_ne_u32_e32 vcc, 0, v11
	v_lshrrev_b32_e32 v20, v13, v17
	v_lshlrev_b32_e32 v7, v7, v19
	v_lshl_or_b32 v18, v14, 12, v11
	v_cndmask_b32_e64 v11, 0, 1, vcc
	v_lshlrev_b32_e32 v13, v13, v20
	v_cmp_ne_u32_e32 vcc, v7, v15
	v_cndmask_b32_e64 v7, 0, 1, vcc
	v_cmp_ne_u32_e32 vcc, v13, v17
	v_cndmask_b32_e64 v13, 0, 1, vcc
	v_or_b32_e32 v7, v19, v7
	v_cmp_gt_i32_e32 vcc, 1, v9
	v_cndmask_b32_e32 v7, v16, v7, vcc
	v_or_b32_e32 v13, v20, v13
	v_cmp_gt_i32_e32 vcc, 1, v14
	v_and_b32_e32 v15, 7, v7
	v_cndmask_b32_e32 v13, v18, v13, vcc
	v_cmp_lt_i32_e32 vcc, 5, v15
	v_cmp_eq_u32_e64 s[0:1], 3, v15
	v_lshrrev_b32_e32 v7, 2, v7
	v_and_b32_e32 v16, 7, v13
	s_or_b64 vcc, s[0:1], vcc
	v_cmp_lt_i32_e64 s[2:3], 5, v16
	v_cmp_eq_u32_e64 s[4:5], 3, v16
	v_addc_co_u32_e32 v7, vcc, 0, v7, vcc
	v_lshrrev_b32_e32 v13, 2, v13
	s_or_b64 vcc, s[4:5], s[2:3]
	v_addc_co_u32_e32 v13, vcc, 0, v13, vcc
	v_cmp_gt_i32_e32 vcc, 31, v9
	v_cndmask_b32_e32 v7, v0, v7, vcc
	v_cmp_gt_i32_e32 vcc, 31, v14
	v_lshl_or_b32 v6, v6, 9, v0
	v_cndmask_b32_e32 v13, v0, v13, vcc
	v_cmp_eq_u32_e32 vcc, s18, v9
	v_lshrrev_b32_e32 v10, 16, v10
	v_lshl_or_b32 v11, v11, 9, v0
	v_cndmask_b32_e32 v6, v7, v6, vcc
	v_cmp_eq_u32_e32 vcc, s18, v14
	v_lshrrev_b32_e32 v12, 16, v12
	v_cndmask_b32_e32 v7, v13, v11, vcc
	v_and_or_b32 v6, v10, s17, v6
	v_and_or_b32 v7, v12, s17, v7
	v_and_b32_e32 v6, 0xffff, v6
	v_lshl_or_b32 v6, v7, 16, v6
	global_store_dword v[4:5], v6, off
	global_load_dword v9, v42, s[6:7] offset:1792
	v_lshrrev_b32_e32 v11, 16, v8
	v_or_b32_e32 v10, 0x1c0, v233
	v_mad_u64_u32 v[6:7], s[0:1], s8, v10, 0
	s_waitcnt vmcnt(0)
	v_mul_f16_sdwa v12, v11, v9 dst_sel:DWORD dst_unused:UNUSED_PAD src0_sel:DWORD src1_sel:WORD_1
	v_fma_f16 v12, v8, v9, v12
	v_cvt_f32_f16_e32 v12, v12
	v_mul_f16_sdwa v8, v8, v9 dst_sel:DWORD dst_unused:UNUSED_PAD src0_sel:DWORD src1_sel:WORD_1
	v_fma_f16 v8, v9, v11, -v8
	v_cvt_f32_f16_e32 v13, v8
	v_cvt_f64_f32_e32 v[8:9], v12
	v_mad_u64_u32 v[10:11], s[0:1], s9, v10, v[7:8]
	v_cvt_f64_f32_e32 v[11:12], v13
	v_mul_f64 v[8:9], v[8:9], s[14:15]
	v_mov_b32_e32 v7, v10
	v_lshlrev_b64 v[6:7], 2, v[6:7]
	v_mul_f64 v[10:11], v[11:12], s[14:15]
	v_add_co_u32_e32 v6, vcc, v1, v6
	v_addc_co_u32_e32 v7, vcc, v2, v7, vcc
	v_and_or_b32 v8, v9, s16, v8
	v_cmp_ne_u32_e32 vcc, 0, v8
	v_lshrrev_b32_e32 v12, 8, v9
	v_and_or_b32 v10, v11, s16, v10
	v_bfe_u32 v13, v9, 20, 11
	v_cndmask_b32_e64 v8, 0, 1, vcc
	v_cmp_ne_u32_e32 vcc, 0, v10
	v_lshrrev_b32_e32 v14, 8, v11
	v_bfe_u32 v15, v11, 20, 11
	v_sub_u32_e32 v16, 0x3f1, v13
	v_cndmask_b32_e64 v10, 0, 1, vcc
	v_and_or_b32 v8, v12, s10, v8
	v_sub_u32_e32 v17, 0x3f1, v15
	v_med3_i32 v12, v16, 0, 13
	v_and_or_b32 v10, v14, s10, v10
	v_or_b32_e32 v16, 0x1000, v8
	v_add_u32_e32 v13, 0xfffffc10, v13
	v_med3_i32 v14, v17, 0, 13
	v_cmp_ne_u32_e32 vcc, 0, v8
	v_or_b32_e32 v18, 0x1000, v10
	v_lshrrev_b32_e32 v20, v12, v16
	v_add_u32_e32 v15, 0xfffffc10, v15
	v_lshl_or_b32 v17, v13, 12, v8
	v_cndmask_b32_e64 v8, 0, 1, vcc
	v_cmp_ne_u32_e32 vcc, 0, v10
	v_lshrrev_b32_e32 v21, v14, v18
	v_lshlrev_b32_e32 v12, v12, v20
	v_lshl_or_b32 v19, v15, 12, v10
	v_cndmask_b32_e64 v10, 0, 1, vcc
	v_lshlrev_b32_e32 v14, v14, v21
	v_cmp_ne_u32_e32 vcc, v12, v16
	v_cndmask_b32_e64 v12, 0, 1, vcc
	v_cmp_ne_u32_e32 vcc, v14, v18
	v_cndmask_b32_e64 v14, 0, 1, vcc
	v_or_b32_e32 v12, v20, v12
	v_cmp_gt_i32_e32 vcc, 1, v13
	v_cndmask_b32_e32 v12, v17, v12, vcc
	v_or_b32_e32 v14, v21, v14
	v_cmp_gt_i32_e32 vcc, 1, v15
	v_and_b32_e32 v16, 7, v12
	v_cndmask_b32_e32 v14, v19, v14, vcc
	v_cmp_lt_i32_e32 vcc, 5, v16
	v_cmp_eq_u32_e64 s[0:1], 3, v16
	v_lshrrev_b32_e32 v12, 2, v12
	v_and_b32_e32 v17, 7, v14
	s_or_b64 vcc, s[0:1], vcc
	v_cmp_lt_i32_e64 s[2:3], 5, v17
	v_cmp_eq_u32_e64 s[4:5], 3, v17
	v_addc_co_u32_e32 v12, vcc, 0, v12, vcc
	v_lshrrev_b32_e32 v14, 2, v14
	s_or_b64 vcc, s[4:5], s[2:3]
	v_addc_co_u32_e32 v14, vcc, 0, v14, vcc
	v_cmp_gt_i32_e32 vcc, 31, v13
	v_cndmask_b32_e32 v12, v0, v12, vcc
	v_cmp_gt_i32_e32 vcc, 31, v15
	v_lshl_or_b32 v8, v8, 9, v0
	v_cndmask_b32_e32 v14, v0, v14, vcc
	v_cmp_eq_u32_e32 vcc, s18, v13
	v_lshrrev_b32_e32 v9, 16, v9
	v_lshl_or_b32 v10, v10, 9, v0
	v_cndmask_b32_e32 v8, v12, v8, vcc
	v_cmp_eq_u32_e32 vcc, s18, v15
	v_lshrrev_b32_e32 v11, 16, v11
	v_cndmask_b32_e32 v10, v14, v10, vcc
	v_and_or_b32 v8, v9, s17, v8
	v_and_or_b32 v9, v11, s17, v10
	v_and_b32_e32 v8, 0xffff, v8
	v_lshl_or_b32 v8, v9, 16, v8
	global_store_dword v[6:7], v8, off
	global_load_dword v8, v42, s[6:7] offset:2016
	v_add_u32_e32 v6, 0x600, v43
	ds_read2_b32 v[6:7], v6 offset0:120 offset1:176
	s_waitcnt lgkmcnt(0)
	v_lshrrev_b32_e32 v9, 16, v6
	s_waitcnt vmcnt(0)
	v_mul_f16_sdwa v10, v9, v8 dst_sel:DWORD dst_unused:UNUSED_PAD src0_sel:DWORD src1_sel:WORD_1
	v_fma_f16 v10, v6, v8, v10
	v_mul_f16_sdwa v6, v6, v8 dst_sel:DWORD dst_unused:UNUSED_PAD src0_sel:DWORD src1_sel:WORD_1
	v_cvt_f32_f16_e32 v10, v10
	v_fma_f16 v6, v8, v9, -v6
	v_cvt_f32_f16_e32 v6, v6
	v_cvt_f64_f32_e32 v[8:9], v10
	v_cvt_f64_f32_e32 v[10:11], v6
	v_mov_b32_e32 v6, 0x1c0
	v_mul_f64 v[8:9], v[8:9], s[14:15]
	v_mad_u64_u32 v[4:5], s[0:1], s8, v6, v[4:5]
	v_mul_f64 v[10:11], v[10:11], s[14:15]
	s_mul_i32 s0, s9, 0x1c0
	v_add_u32_e32 v5, s0, v5
	v_and_or_b32 v6, v9, s16, v8
	v_cmp_ne_u32_e32 vcc, 0, v6
	v_lshrrev_b32_e32 v8, 8, v9
	v_and_or_b32 v10, v11, s16, v10
	v_bfe_u32 v12, v9, 20, 11
	v_cndmask_b32_e64 v6, 0, 1, vcc
	v_cmp_ne_u32_e32 vcc, 0, v10
	v_lshrrev_b32_e32 v13, 8, v11
	v_bfe_u32 v14, v11, 20, 11
	v_sub_u32_e32 v15, 0x3f1, v12
	v_cndmask_b32_e64 v10, 0, 1, vcc
	v_and_or_b32 v6, v8, s10, v6
	v_sub_u32_e32 v16, 0x3f1, v14
	v_med3_i32 v8, v15, 0, 13
	v_and_or_b32 v10, v13, s10, v10
	v_or_b32_e32 v15, 0x1000, v6
	v_add_u32_e32 v12, 0xfffffc10, v12
	v_med3_i32 v13, v16, 0, 13
	v_cmp_ne_u32_e32 vcc, 0, v6
	v_or_b32_e32 v17, 0x1000, v10
	v_lshrrev_b32_e32 v19, v8, v15
	v_add_u32_e32 v14, 0xfffffc10, v14
	v_lshl_or_b32 v16, v12, 12, v6
	v_cndmask_b32_e64 v6, 0, 1, vcc
	v_cmp_ne_u32_e32 vcc, 0, v10
	v_lshrrev_b32_e32 v20, v13, v17
	v_lshlrev_b32_e32 v8, v8, v19
	v_lshl_or_b32 v18, v14, 12, v10
	v_cndmask_b32_e64 v10, 0, 1, vcc
	v_lshlrev_b32_e32 v13, v13, v20
	v_cmp_ne_u32_e32 vcc, v8, v15
	v_cndmask_b32_e64 v8, 0, 1, vcc
	v_cmp_ne_u32_e32 vcc, v13, v17
	v_cndmask_b32_e64 v13, 0, 1, vcc
	v_or_b32_e32 v8, v19, v8
	v_cmp_gt_i32_e32 vcc, 1, v12
	v_cndmask_b32_e32 v8, v16, v8, vcc
	v_or_b32_e32 v13, v20, v13
	v_cmp_gt_i32_e32 vcc, 1, v14
	v_and_b32_e32 v15, 7, v8
	v_cndmask_b32_e32 v13, v18, v13, vcc
	v_cmp_lt_i32_e32 vcc, 5, v15
	v_cmp_eq_u32_e64 s[0:1], 3, v15
	v_lshrrev_b32_e32 v8, 2, v8
	v_and_b32_e32 v16, 7, v13
	s_or_b64 vcc, s[0:1], vcc
	v_cmp_lt_i32_e64 s[2:3], 5, v16
	v_cmp_eq_u32_e64 s[4:5], 3, v16
	v_addc_co_u32_e32 v8, vcc, 0, v8, vcc
	v_lshrrev_b32_e32 v13, 2, v13
	s_or_b64 vcc, s[4:5], s[2:3]
	v_addc_co_u32_e32 v13, vcc, 0, v13, vcc
	v_cmp_gt_i32_e32 vcc, 31, v12
	v_cndmask_b32_e32 v8, v0, v8, vcc
	v_cmp_gt_i32_e32 vcc, 31, v14
	v_lshl_or_b32 v6, v6, 9, v0
	v_cndmask_b32_e32 v13, v0, v13, vcc
	v_cmp_eq_u32_e32 vcc, s18, v12
	v_lshrrev_b32_e32 v9, 16, v9
	v_lshl_or_b32 v10, v10, 9, v0
	v_cndmask_b32_e32 v6, v8, v6, vcc
	v_cmp_eq_u32_e32 vcc, s18, v14
	v_lshrrev_b32_e32 v11, 16, v11
	v_cndmask_b32_e32 v8, v13, v10, vcc
	v_and_or_b32 v6, v9, s17, v6
	v_and_or_b32 v8, v11, s17, v8
	v_and_b32_e32 v6, 0xffff, v6
	v_lshl_or_b32 v6, v8, 16, v6
	global_store_dword v[4:5], v6, off
	global_load_dword v6, v42, s[6:7] offset:2240
	v_lshrrev_b32_e32 v8, 16, v7
	v_mov_b32_e32 v10, s12
	v_add_co_u32_e32 v4, vcc, s11, v4
	v_addc_co_u32_e32 v5, vcc, v5, v10, vcc
	s_waitcnt vmcnt(0)
	v_mul_f16_sdwa v9, v8, v6 dst_sel:DWORD dst_unused:UNUSED_PAD src0_sel:DWORD src1_sel:WORD_1
	v_fma_f16 v9, v7, v6, v9
	v_mul_f16_sdwa v7, v7, v6 dst_sel:DWORD dst_unused:UNUSED_PAD src0_sel:DWORD src1_sel:WORD_1
	v_cvt_f32_f16_e32 v9, v9
	v_fma_f16 v6, v6, v8, -v7
	v_cvt_f32_f16_e32 v8, v6
	v_cvt_f64_f32_e32 v[6:7], v9
	v_cvt_f64_f32_e32 v[8:9], v8
	v_mul_f64 v[6:7], v[6:7], s[14:15]
	v_mul_f64 v[8:9], v[8:9], s[14:15]
	v_and_or_b32 v6, v7, s16, v6
	v_cmp_ne_u32_e32 vcc, 0, v6
	v_and_or_b32 v8, v9, s16, v8
	v_lshrrev_b32_e32 v10, 8, v7
	v_bfe_u32 v11, v7, 20, 11
	v_cndmask_b32_e64 v6, 0, 1, vcc
	v_cmp_ne_u32_e32 vcc, 0, v8
	v_lshrrev_b32_e32 v12, 8, v9
	v_bfe_u32 v13, v9, 20, 11
	v_sub_u32_e32 v14, 0x3f1, v11
	v_cndmask_b32_e64 v8, 0, 1, vcc
	v_and_or_b32 v6, v10, s10, v6
	v_sub_u32_e32 v15, 0x3f1, v13
	v_med3_i32 v10, v14, 0, 13
	v_and_or_b32 v8, v12, s10, v8
	v_or_b32_e32 v14, 0x1000, v6
	v_add_u32_e32 v11, 0xfffffc10, v11
	v_med3_i32 v12, v15, 0, 13
	v_cmp_ne_u32_e32 vcc, 0, v6
	v_or_b32_e32 v16, 0x1000, v8
	v_lshrrev_b32_e32 v18, v10, v14
	v_add_u32_e32 v13, 0xfffffc10, v13
	v_lshl_or_b32 v15, v11, 12, v6
	v_cndmask_b32_e64 v6, 0, 1, vcc
	v_cmp_ne_u32_e32 vcc, 0, v8
	v_lshrrev_b32_e32 v19, v12, v16
	v_lshlrev_b32_e32 v10, v10, v18
	v_lshl_or_b32 v17, v13, 12, v8
	v_cndmask_b32_e64 v8, 0, 1, vcc
	v_lshlrev_b32_e32 v12, v12, v19
	v_cmp_ne_u32_e32 vcc, v10, v14
	v_cndmask_b32_e64 v10, 0, 1, vcc
	v_cmp_ne_u32_e32 vcc, v12, v16
	v_cndmask_b32_e64 v12, 0, 1, vcc
	v_or_b32_e32 v10, v18, v10
	v_cmp_gt_i32_e32 vcc, 1, v11
	v_cndmask_b32_e32 v10, v15, v10, vcc
	v_or_b32_e32 v12, v19, v12
	v_cmp_gt_i32_e32 vcc, 1, v13
	v_and_b32_e32 v14, 7, v10
	v_cndmask_b32_e32 v12, v17, v12, vcc
	v_cmp_lt_i32_e32 vcc, 5, v14
	v_cmp_eq_u32_e64 s[0:1], 3, v14
	v_lshrrev_b32_e32 v10, 2, v10
	v_and_b32_e32 v15, 7, v12
	s_or_b64 vcc, s[0:1], vcc
	v_cmp_lt_i32_e64 s[2:3], 5, v15
	v_cmp_eq_u32_e64 s[4:5], 3, v15
	v_addc_co_u32_e32 v10, vcc, 0, v10, vcc
	v_lshrrev_b32_e32 v12, 2, v12
	s_or_b64 vcc, s[4:5], s[2:3]
	v_addc_co_u32_e32 v12, vcc, 0, v12, vcc
	v_cmp_gt_i32_e32 vcc, 31, v11
	v_cndmask_b32_e32 v10, v0, v10, vcc
	v_cmp_gt_i32_e32 vcc, 31, v13
	v_lshl_or_b32 v6, v6, 9, v0
	v_cndmask_b32_e32 v12, v0, v12, vcc
	v_cmp_eq_u32_e32 vcc, s18, v11
	v_lshrrev_b32_e32 v7, 16, v7
	v_lshl_or_b32 v8, v8, 9, v0
	v_cndmask_b32_e32 v6, v10, v6, vcc
	v_cmp_eq_u32_e32 vcc, s18, v13
	v_lshrrev_b32_e32 v9, 16, v9
	v_cndmask_b32_e32 v8, v12, v8, vcc
	v_and_or_b32 v6, v7, s17, v6
	v_and_or_b32 v7, v9, s17, v8
	v_and_b32_e32 v6, 0xffff, v6
	v_lshl_or_b32 v6, v7, 16, v6
	global_store_dword v[4:5], v6, off
	global_load_dword v8, v42, s[6:7] offset:2464
	ds_read2_b32 v[6:7], v3 offset0:104 offset1:160
	s_waitcnt lgkmcnt(0)
	v_lshrrev_b32_e32 v3, 16, v6
	s_waitcnt vmcnt(0)
	v_mul_f16_sdwa v9, v3, v8 dst_sel:DWORD dst_unused:UNUSED_PAD src0_sel:DWORD src1_sel:WORD_1
	v_fma_f16 v9, v6, v8, v9
	v_mul_f16_sdwa v6, v6, v8 dst_sel:DWORD dst_unused:UNUSED_PAD src0_sel:DWORD src1_sel:WORD_1
	v_cvt_f32_f16_e32 v9, v9
	v_fma_f16 v3, v8, v3, -v6
	v_cvt_f32_f16_e32 v3, v3
	v_mov_b32_e32 v6, s12
	v_cvt_f64_f32_e32 v[8:9], v9
	v_cvt_f64_f32_e32 v[10:11], v3
	v_add_co_u32_e32 v3, vcc, s11, v4
	v_mul_f64 v[8:9], v[8:9], s[14:15]
	v_mul_f64 v[10:11], v[10:11], s[14:15]
	v_addc_co_u32_e32 v4, vcc, v5, v6, vcc
	v_and_or_b32 v5, v9, s16, v8
	v_and_or_b32 v10, v11, s16, v10
	v_cmp_ne_u32_e32 vcc, 0, v5
	v_lshrrev_b32_e32 v6, 8, v9
	v_bfe_u32 v8, v9, 20, 11
	v_cndmask_b32_e64 v5, 0, 1, vcc
	v_cmp_ne_u32_e32 vcc, 0, v10
	v_lshrrev_b32_e32 v12, 8, v11
	v_bfe_u32 v13, v11, 20, 11
	v_sub_u32_e32 v14, 0x3f1, v8
	v_cndmask_b32_e64 v10, 0, 1, vcc
	v_and_or_b32 v5, v6, s10, v5
	v_sub_u32_e32 v15, 0x3f1, v13
	v_med3_i32 v6, v14, 0, 13
	v_and_or_b32 v10, v12, s10, v10
	v_or_b32_e32 v14, 0x1000, v5
	v_add_u32_e32 v8, 0xfffffc10, v8
	v_med3_i32 v12, v15, 0, 13
	v_cmp_ne_u32_e32 vcc, 0, v5
	v_or_b32_e32 v16, 0x1000, v10
	v_lshrrev_b32_e32 v18, v6, v14
	v_add_u32_e32 v13, 0xfffffc10, v13
	v_lshl_or_b32 v15, v8, 12, v5
	v_cndmask_b32_e64 v5, 0, 1, vcc
	v_cmp_ne_u32_e32 vcc, 0, v10
	v_lshrrev_b32_e32 v19, v12, v16
	v_lshlrev_b32_e32 v6, v6, v18
	v_lshl_or_b32 v17, v13, 12, v10
	v_cndmask_b32_e64 v10, 0, 1, vcc
	v_lshlrev_b32_e32 v12, v12, v19
	v_cmp_ne_u32_e32 vcc, v6, v14
	v_cndmask_b32_e64 v6, 0, 1, vcc
	v_cmp_ne_u32_e32 vcc, v12, v16
	v_cndmask_b32_e64 v12, 0, 1, vcc
	v_or_b32_e32 v6, v18, v6
	v_cmp_gt_i32_e32 vcc, 1, v8
	v_cndmask_b32_e32 v6, v15, v6, vcc
	v_or_b32_e32 v12, v19, v12
	v_cmp_gt_i32_e32 vcc, 1, v13
	v_and_b32_e32 v14, 7, v6
	v_cndmask_b32_e32 v12, v17, v12, vcc
	v_cmp_lt_i32_e32 vcc, 5, v14
	v_cmp_eq_u32_e64 s[0:1], 3, v14
	v_lshrrev_b32_e32 v6, 2, v6
	v_and_b32_e32 v15, 7, v12
	s_or_b64 vcc, s[0:1], vcc
	v_cmp_lt_i32_e64 s[2:3], 5, v15
	v_cmp_eq_u32_e64 s[4:5], 3, v15
	v_addc_co_u32_e32 v6, vcc, 0, v6, vcc
	v_lshrrev_b32_e32 v12, 2, v12
	s_or_b64 vcc, s[4:5], s[2:3]
	v_addc_co_u32_e32 v12, vcc, 0, v12, vcc
	v_cmp_gt_i32_e32 vcc, 31, v8
	v_cndmask_b32_e32 v6, v0, v6, vcc
	v_cmp_gt_i32_e32 vcc, 31, v13
	v_lshl_or_b32 v5, v5, 9, v0
	v_cndmask_b32_e32 v12, v0, v12, vcc
	v_cmp_eq_u32_e32 vcc, s18, v8
	v_lshrrev_b32_e32 v9, 16, v9
	v_lshl_or_b32 v10, v10, 9, v0
	v_cndmask_b32_e32 v5, v6, v5, vcc
	v_cmp_eq_u32_e32 vcc, s18, v13
	v_lshrrev_b32_e32 v11, 16, v11
	v_cndmask_b32_e32 v6, v12, v10, vcc
	v_and_or_b32 v5, v9, s17, v5
	v_and_or_b32 v6, v11, s17, v6
	v_and_b32_e32 v5, 0xffff, v5
	v_lshl_or_b32 v5, v6, 16, v5
	global_store_dword v[3:4], v5, off
	global_load_dword v5, v42, s[6:7] offset:2688
	v_lshrrev_b32_e32 v6, 16, v7
	v_mov_b32_e32 v9, s12
	v_add_co_u32_e32 v3, vcc, s11, v3
	v_addc_co_u32_e32 v4, vcc, v4, v9, vcc
	s_waitcnt vmcnt(0)
	v_mul_f16_sdwa v8, v6, v5 dst_sel:DWORD dst_unused:UNUSED_PAD src0_sel:DWORD src1_sel:WORD_1
	v_fma_f16 v8, v7, v5, v8
	v_mul_f16_sdwa v7, v7, v5 dst_sel:DWORD dst_unused:UNUSED_PAD src0_sel:DWORD src1_sel:WORD_1
	v_cvt_f32_f16_e32 v8, v8
	v_fma_f16 v5, v5, v6, -v7
	v_cvt_f32_f16_e32 v7, v5
	v_cvt_f64_f32_e32 v[5:6], v8
	v_cvt_f64_f32_e32 v[7:8], v7
	v_mul_f64 v[5:6], v[5:6], s[14:15]
	v_mul_f64 v[7:8], v[7:8], s[14:15]
	v_and_or_b32 v5, v6, s16, v5
	v_cmp_ne_u32_e32 vcc, 0, v5
	v_and_or_b32 v7, v8, s16, v7
	v_lshrrev_b32_e32 v9, 8, v6
	v_bfe_u32 v10, v6, 20, 11
	v_cndmask_b32_e64 v5, 0, 1, vcc
	v_cmp_ne_u32_e32 vcc, 0, v7
	v_lshrrev_b32_e32 v11, 8, v8
	v_bfe_u32 v12, v8, 20, 11
	v_sub_u32_e32 v13, 0x3f1, v10
	v_cndmask_b32_e64 v7, 0, 1, vcc
	v_and_or_b32 v5, v9, s10, v5
	v_sub_u32_e32 v14, 0x3f1, v12
	v_med3_i32 v9, v13, 0, 13
	v_and_or_b32 v7, v11, s10, v7
	v_or_b32_e32 v13, 0x1000, v5
	v_add_u32_e32 v10, 0xfffffc10, v10
	v_med3_i32 v11, v14, 0, 13
	v_cmp_ne_u32_e32 vcc, 0, v5
	v_or_b32_e32 v15, 0x1000, v7
	v_lshrrev_b32_e32 v17, v9, v13
	v_add_u32_e32 v12, 0xfffffc10, v12
	v_lshl_or_b32 v14, v10, 12, v5
	v_cndmask_b32_e64 v5, 0, 1, vcc
	v_cmp_ne_u32_e32 vcc, 0, v7
	v_lshrrev_b32_e32 v18, v11, v15
	v_lshlrev_b32_e32 v9, v9, v17
	v_lshl_or_b32 v16, v12, 12, v7
	v_cndmask_b32_e64 v7, 0, 1, vcc
	v_lshlrev_b32_e32 v11, v11, v18
	v_cmp_ne_u32_e32 vcc, v9, v13
	v_cndmask_b32_e64 v9, 0, 1, vcc
	v_cmp_ne_u32_e32 vcc, v11, v15
	v_cndmask_b32_e64 v11, 0, 1, vcc
	v_or_b32_e32 v9, v17, v9
	v_cmp_gt_i32_e32 vcc, 1, v10
	v_cndmask_b32_e32 v9, v14, v9, vcc
	v_or_b32_e32 v11, v18, v11
	v_cmp_gt_i32_e32 vcc, 1, v12
	v_and_b32_e32 v13, 7, v9
	v_cndmask_b32_e32 v11, v16, v11, vcc
	v_cmp_lt_i32_e32 vcc, 5, v13
	v_cmp_eq_u32_e64 s[0:1], 3, v13
	v_lshrrev_b32_e32 v9, 2, v9
	v_and_b32_e32 v14, 7, v11
	s_or_b64 vcc, s[0:1], vcc
	v_cmp_lt_i32_e64 s[2:3], 5, v14
	v_cmp_eq_u32_e64 s[4:5], 3, v14
	v_addc_co_u32_e32 v9, vcc, 0, v9, vcc
	v_lshrrev_b32_e32 v11, 2, v11
	s_or_b64 vcc, s[4:5], s[2:3]
	v_addc_co_u32_e32 v11, vcc, 0, v11, vcc
	v_cmp_gt_i32_e32 vcc, 31, v10
	v_cndmask_b32_e32 v9, v0, v9, vcc
	v_cmp_gt_i32_e32 vcc, 31, v12
	v_lshl_or_b32 v5, v5, 9, v0
	v_cndmask_b32_e32 v11, v0, v11, vcc
	v_cmp_eq_u32_e32 vcc, s18, v10
	v_lshrrev_b32_e32 v6, 16, v6
	v_lshl_or_b32 v7, v7, 9, v0
	v_cndmask_b32_e32 v5, v9, v5, vcc
	v_cmp_eq_u32_e32 vcc, s18, v12
	v_lshrrev_b32_e32 v8, 16, v8
	v_cndmask_b32_e32 v7, v11, v7, vcc
	v_and_or_b32 v5, v6, s17, v5
	v_and_or_b32 v6, v8, s17, v7
	v_and_b32_e32 v5, 0xffff, v5
	v_lshl_or_b32 v5, v6, 16, v5
	global_store_dword v[3:4], v5, off
	global_load_dword v7, v42, s[6:7] offset:2912
	v_add_u32_e32 v5, 0xa00, v43
	ds_read2_b32 v[5:6], v5 offset0:88 offset1:144
	v_add_co_u32_e32 v3, vcc, s11, v3
	s_waitcnt lgkmcnt(0)
	v_lshrrev_b32_e32 v8, 16, v5
	s_waitcnt vmcnt(0)
	v_mul_f16_sdwa v9, v8, v7 dst_sel:DWORD dst_unused:UNUSED_PAD src0_sel:DWORD src1_sel:WORD_1
	v_fma_f16 v9, v5, v7, v9
	v_mul_f16_sdwa v5, v5, v7 dst_sel:DWORD dst_unused:UNUSED_PAD src0_sel:DWORD src1_sel:WORD_1
	v_cvt_f32_f16_e32 v9, v9
	v_fma_f16 v5, v7, v8, -v5
	v_cvt_f32_f16_e32 v5, v5
	v_cvt_f64_f32_e32 v[7:8], v9
	v_cvt_f64_f32_e32 v[9:10], v5
	v_mov_b32_e32 v5, s12
	v_mul_f64 v[7:8], v[7:8], s[14:15]
	v_addc_co_u32_e32 v4, vcc, v4, v5, vcc
	v_mul_f64 v[9:10], v[9:10], s[14:15]
	v_and_or_b32 v5, v8, s16, v7
	v_cmp_ne_u32_e32 vcc, 0, v5
	v_lshrrev_b32_e32 v7, 8, v8
	v_and_or_b32 v9, v10, s16, v9
	v_bfe_u32 v11, v8, 20, 11
	v_cndmask_b32_e64 v5, 0, 1, vcc
	v_cmp_ne_u32_e32 vcc, 0, v9
	v_lshrrev_b32_e32 v12, 8, v10
	v_bfe_u32 v13, v10, 20, 11
	v_sub_u32_e32 v14, 0x3f1, v11
	v_cndmask_b32_e64 v9, 0, 1, vcc
	v_and_or_b32 v5, v7, s10, v5
	v_sub_u32_e32 v15, 0x3f1, v13
	v_med3_i32 v7, v14, 0, 13
	v_and_or_b32 v9, v12, s10, v9
	v_or_b32_e32 v14, 0x1000, v5
	v_add_u32_e32 v11, 0xfffffc10, v11
	v_med3_i32 v12, v15, 0, 13
	v_cmp_ne_u32_e32 vcc, 0, v5
	v_or_b32_e32 v16, 0x1000, v9
	v_lshrrev_b32_e32 v18, v7, v14
	v_add_u32_e32 v13, 0xfffffc10, v13
	v_lshl_or_b32 v15, v11, 12, v5
	v_cndmask_b32_e64 v5, 0, 1, vcc
	v_cmp_ne_u32_e32 vcc, 0, v9
	v_lshrrev_b32_e32 v19, v12, v16
	v_lshlrev_b32_e32 v7, v7, v18
	v_lshl_or_b32 v17, v13, 12, v9
	v_cndmask_b32_e64 v9, 0, 1, vcc
	v_lshlrev_b32_e32 v12, v12, v19
	v_cmp_ne_u32_e32 vcc, v7, v14
	v_cndmask_b32_e64 v7, 0, 1, vcc
	v_cmp_ne_u32_e32 vcc, v12, v16
	v_cndmask_b32_e64 v12, 0, 1, vcc
	v_or_b32_e32 v7, v18, v7
	v_cmp_gt_i32_e32 vcc, 1, v11
	v_cndmask_b32_e32 v7, v15, v7, vcc
	v_or_b32_e32 v12, v19, v12
	v_cmp_gt_i32_e32 vcc, 1, v13
	v_and_b32_e32 v14, 7, v7
	v_cndmask_b32_e32 v12, v17, v12, vcc
	v_cmp_lt_i32_e32 vcc, 5, v14
	v_cmp_eq_u32_e64 s[0:1], 3, v14
	v_lshrrev_b32_e32 v7, 2, v7
	v_and_b32_e32 v15, 7, v12
	s_or_b64 vcc, s[0:1], vcc
	v_cmp_lt_i32_e64 s[2:3], 5, v15
	v_cmp_eq_u32_e64 s[4:5], 3, v15
	v_addc_co_u32_e32 v7, vcc, 0, v7, vcc
	v_lshrrev_b32_e32 v12, 2, v12
	s_or_b64 vcc, s[4:5], s[2:3]
	v_addc_co_u32_e32 v12, vcc, 0, v12, vcc
	v_cmp_gt_i32_e32 vcc, 31, v11
	v_cndmask_b32_e32 v7, v0, v7, vcc
	v_cmp_gt_i32_e32 vcc, 31, v13
	v_lshl_or_b32 v5, v5, 9, v0
	v_cndmask_b32_e32 v12, v0, v12, vcc
	v_cmp_eq_u32_e32 vcc, s18, v11
	v_lshrrev_b32_e32 v8, 16, v8
	v_lshl_or_b32 v9, v9, 9, v0
	v_cndmask_b32_e32 v5, v7, v5, vcc
	v_cmp_eq_u32_e32 vcc, s18, v13
	v_lshrrev_b32_e32 v10, 16, v10
	v_cndmask_b32_e32 v7, v12, v9, vcc
	v_and_or_b32 v5, v8, s17, v5
	v_and_or_b32 v7, v10, s17, v7
	v_and_b32_e32 v5, 0xffff, v5
	v_lshl_or_b32 v5, v7, 16, v5
	global_store_dword v[3:4], v5, off
	global_load_dword v5, v42, s[6:7] offset:3136
	v_lshrrev_b32_e32 v7, 16, v6
	v_mov_b32_e32 v9, s12
	v_add_co_u32_e32 v3, vcc, s11, v3
	v_addc_co_u32_e32 v4, vcc, v4, v9, vcc
	s_waitcnt vmcnt(0)
	v_mul_f16_sdwa v8, v7, v5 dst_sel:DWORD dst_unused:UNUSED_PAD src0_sel:DWORD src1_sel:WORD_1
	v_fma_f16 v8, v6, v5, v8
	v_mul_f16_sdwa v6, v6, v5 dst_sel:DWORD dst_unused:UNUSED_PAD src0_sel:DWORD src1_sel:WORD_1
	v_cvt_f32_f16_e32 v8, v8
	v_fma_f16 v5, v5, v7, -v6
	v_cvt_f32_f16_e32 v7, v5
	v_cvt_f64_f32_e32 v[5:6], v8
	v_cvt_f64_f32_e32 v[7:8], v7
	v_mul_f64 v[5:6], v[5:6], s[14:15]
	v_mul_f64 v[7:8], v[7:8], s[14:15]
	v_and_or_b32 v5, v6, s16, v5
	v_cmp_ne_u32_e32 vcc, 0, v5
	v_and_or_b32 v7, v8, s16, v7
	v_lshrrev_b32_e32 v9, 8, v6
	v_bfe_u32 v10, v6, 20, 11
	v_cndmask_b32_e64 v5, 0, 1, vcc
	v_cmp_ne_u32_e32 vcc, 0, v7
	v_lshrrev_b32_e32 v11, 8, v8
	v_bfe_u32 v12, v8, 20, 11
	v_sub_u32_e32 v13, 0x3f1, v10
	v_cndmask_b32_e64 v7, 0, 1, vcc
	v_and_or_b32 v5, v9, s10, v5
	v_sub_u32_e32 v14, 0x3f1, v12
	v_med3_i32 v9, v13, 0, 13
	v_and_or_b32 v7, v11, s10, v7
	v_or_b32_e32 v13, 0x1000, v5
	v_add_u32_e32 v10, 0xfffffc10, v10
	v_med3_i32 v11, v14, 0, 13
	v_cmp_ne_u32_e32 vcc, 0, v5
	v_or_b32_e32 v15, 0x1000, v7
	v_lshrrev_b32_e32 v17, v9, v13
	v_add_u32_e32 v12, 0xfffffc10, v12
	v_lshl_or_b32 v14, v10, 12, v5
	v_cndmask_b32_e64 v5, 0, 1, vcc
	v_cmp_ne_u32_e32 vcc, 0, v7
	v_lshrrev_b32_e32 v18, v11, v15
	v_lshlrev_b32_e32 v9, v9, v17
	v_lshl_or_b32 v16, v12, 12, v7
	v_cndmask_b32_e64 v7, 0, 1, vcc
	v_lshlrev_b32_e32 v11, v11, v18
	v_cmp_ne_u32_e32 vcc, v9, v13
	v_cndmask_b32_e64 v9, 0, 1, vcc
	v_cmp_ne_u32_e32 vcc, v11, v15
	v_cndmask_b32_e64 v11, 0, 1, vcc
	v_or_b32_e32 v9, v17, v9
	v_cmp_gt_i32_e32 vcc, 1, v10
	v_cndmask_b32_e32 v9, v14, v9, vcc
	v_or_b32_e32 v11, v18, v11
	v_cmp_gt_i32_e32 vcc, 1, v12
	v_and_b32_e32 v13, 7, v9
	v_cndmask_b32_e32 v11, v16, v11, vcc
	v_cmp_lt_i32_e32 vcc, 5, v13
	v_cmp_eq_u32_e64 s[0:1], 3, v13
	v_lshrrev_b32_e32 v9, 2, v9
	v_and_b32_e32 v14, 7, v11
	s_or_b64 vcc, s[0:1], vcc
	v_cmp_lt_i32_e64 s[2:3], 5, v14
	v_cmp_eq_u32_e64 s[4:5], 3, v14
	v_addc_co_u32_e32 v9, vcc, 0, v9, vcc
	v_lshrrev_b32_e32 v11, 2, v11
	s_or_b64 vcc, s[4:5], s[2:3]
	v_addc_co_u32_e32 v11, vcc, 0, v11, vcc
	v_cmp_gt_i32_e32 vcc, 31, v10
	v_cndmask_b32_e32 v9, v0, v9, vcc
	v_cmp_gt_i32_e32 vcc, 31, v12
	v_lshl_or_b32 v5, v5, 9, v0
	v_cndmask_b32_e32 v11, v0, v11, vcc
	v_cmp_eq_u32_e32 vcc, s18, v10
	v_lshrrev_b32_e32 v6, 16, v6
	v_lshl_or_b32 v7, v7, 9, v0
	v_cndmask_b32_e32 v5, v9, v5, vcc
	v_cmp_eq_u32_e32 vcc, s18, v12
	v_lshrrev_b32_e32 v8, 16, v8
	v_cndmask_b32_e32 v7, v11, v7, vcc
	v_and_or_b32 v5, v6, s17, v5
	v_and_or_b32 v6, v8, s17, v7
	v_and_b32_e32 v5, 0xffff, v5
	v_lshl_or_b32 v5, v6, 16, v5
	global_store_dword v[3:4], v5, off
	global_load_dword v7, v42, s[6:7] offset:3360
	v_add_u32_e32 v5, 0xc00, v43
	ds_read2_b32 v[5:6], v5 offset0:72 offset1:128
	v_add_co_u32_e32 v3, vcc, s11, v3
	s_waitcnt lgkmcnt(0)
	v_lshrrev_b32_e32 v8, 16, v5
	s_waitcnt vmcnt(0)
	v_mul_f16_sdwa v9, v8, v7 dst_sel:DWORD dst_unused:UNUSED_PAD src0_sel:DWORD src1_sel:WORD_1
	v_fma_f16 v9, v5, v7, v9
	v_mul_f16_sdwa v5, v5, v7 dst_sel:DWORD dst_unused:UNUSED_PAD src0_sel:DWORD src1_sel:WORD_1
	v_cvt_f32_f16_e32 v9, v9
	v_fma_f16 v5, v7, v8, -v5
	v_cvt_f32_f16_e32 v5, v5
	v_cvt_f64_f32_e32 v[7:8], v9
	v_cvt_f64_f32_e32 v[9:10], v5
	v_mov_b32_e32 v5, s12
	v_mul_f64 v[7:8], v[7:8], s[14:15]
	v_addc_co_u32_e32 v4, vcc, v4, v5, vcc
	v_mul_f64 v[9:10], v[9:10], s[14:15]
	v_and_or_b32 v5, v8, s16, v7
	v_cmp_ne_u32_e32 vcc, 0, v5
	v_lshrrev_b32_e32 v7, 8, v8
	v_and_or_b32 v9, v10, s16, v9
	v_bfe_u32 v11, v8, 20, 11
	v_cndmask_b32_e64 v5, 0, 1, vcc
	v_cmp_ne_u32_e32 vcc, 0, v9
	v_lshrrev_b32_e32 v12, 8, v10
	v_bfe_u32 v13, v10, 20, 11
	v_sub_u32_e32 v14, 0x3f1, v11
	v_cndmask_b32_e64 v9, 0, 1, vcc
	v_and_or_b32 v5, v7, s10, v5
	v_sub_u32_e32 v15, 0x3f1, v13
	v_med3_i32 v7, v14, 0, 13
	v_and_or_b32 v9, v12, s10, v9
	v_or_b32_e32 v14, 0x1000, v5
	v_add_u32_e32 v11, 0xfffffc10, v11
	v_med3_i32 v12, v15, 0, 13
	v_cmp_ne_u32_e32 vcc, 0, v5
	v_or_b32_e32 v16, 0x1000, v9
	v_lshrrev_b32_e32 v18, v7, v14
	v_add_u32_e32 v13, 0xfffffc10, v13
	v_lshl_or_b32 v15, v11, 12, v5
	v_cndmask_b32_e64 v5, 0, 1, vcc
	v_cmp_ne_u32_e32 vcc, 0, v9
	v_lshrrev_b32_e32 v19, v12, v16
	v_lshlrev_b32_e32 v7, v7, v18
	v_lshl_or_b32 v17, v13, 12, v9
	v_cndmask_b32_e64 v9, 0, 1, vcc
	v_lshlrev_b32_e32 v12, v12, v19
	v_cmp_ne_u32_e32 vcc, v7, v14
	v_cndmask_b32_e64 v7, 0, 1, vcc
	v_cmp_ne_u32_e32 vcc, v12, v16
	v_cndmask_b32_e64 v12, 0, 1, vcc
	v_or_b32_e32 v7, v18, v7
	v_cmp_gt_i32_e32 vcc, 1, v11
	v_cndmask_b32_e32 v7, v15, v7, vcc
	v_or_b32_e32 v12, v19, v12
	v_cmp_gt_i32_e32 vcc, 1, v13
	v_and_b32_e32 v14, 7, v7
	v_cndmask_b32_e32 v12, v17, v12, vcc
	v_cmp_lt_i32_e32 vcc, 5, v14
	v_cmp_eq_u32_e64 s[0:1], 3, v14
	v_lshrrev_b32_e32 v7, 2, v7
	v_and_b32_e32 v15, 7, v12
	s_or_b64 vcc, s[0:1], vcc
	v_cmp_lt_i32_e64 s[2:3], 5, v15
	v_cmp_eq_u32_e64 s[4:5], 3, v15
	v_addc_co_u32_e32 v7, vcc, 0, v7, vcc
	v_lshrrev_b32_e32 v12, 2, v12
	s_or_b64 vcc, s[4:5], s[2:3]
	v_addc_co_u32_e32 v12, vcc, 0, v12, vcc
	v_cmp_gt_i32_e32 vcc, 31, v11
	v_cndmask_b32_e32 v7, v0, v7, vcc
	v_cmp_gt_i32_e32 vcc, 31, v13
	v_lshl_or_b32 v5, v5, 9, v0
	v_cndmask_b32_e32 v12, v0, v12, vcc
	v_cmp_eq_u32_e32 vcc, s18, v11
	v_lshrrev_b32_e32 v8, 16, v8
	v_lshl_or_b32 v9, v9, 9, v0
	v_cndmask_b32_e32 v5, v7, v5, vcc
	v_cmp_eq_u32_e32 vcc, s18, v13
	v_lshrrev_b32_e32 v10, 16, v10
	v_cndmask_b32_e32 v7, v12, v9, vcc
	v_and_or_b32 v5, v8, s17, v5
	v_and_or_b32 v7, v10, s17, v7
	v_and_b32_e32 v5, 0xffff, v5
	v_lshl_or_b32 v5, v7, 16, v5
	global_store_dword v[3:4], v5, off
	global_load_dword v5, v42, s[6:7] offset:3584
	v_lshrrev_b32_e32 v7, 16, v6
	v_or_b32_e32 v9, 0x380, v233
	v_mad_u64_u32 v[3:4], s[0:1], s8, v9, 0
	s_waitcnt vmcnt(0)
	v_mul_f16_sdwa v8, v7, v5 dst_sel:DWORD dst_unused:UNUSED_PAD src0_sel:DWORD src1_sel:WORD_1
	v_fma_f16 v8, v6, v5, v8
	v_cvt_f32_f16_e32 v8, v8
	v_mul_f16_sdwa v6, v6, v5 dst_sel:DWORD dst_unused:UNUSED_PAD src0_sel:DWORD src1_sel:WORD_1
	v_fma_f16 v5, v5, v7, -v6
	v_cvt_f32_f16_e32 v7, v5
	v_cvt_f64_f32_e32 v[5:6], v8
	v_cvt_f64_f32_e32 v[7:8], v7
	v_mul_f64 v[5:6], v[5:6], s[14:15]
	v_mul_f64 v[7:8], v[7:8], s[14:15]
	v_mad_u64_u32 v[9:10], s[0:1], s9, v9, v[4:5]
	v_and_or_b32 v5, v6, s16, v5
	v_and_or_b32 v7, v8, s16, v7
	v_cmp_ne_u32_e32 vcc, 0, v5
	v_mov_b32_e32 v4, v9
	v_lshrrev_b32_e32 v9, 8, v6
	v_bfe_u32 v10, v6, 20, 11
	v_cndmask_b32_e64 v5, 0, 1, vcc
	v_cmp_ne_u32_e32 vcc, 0, v7
	v_lshrrev_b32_e32 v11, 8, v8
	v_bfe_u32 v12, v8, 20, 11
	v_sub_u32_e32 v13, 0x3f1, v10
	v_cndmask_b32_e64 v7, 0, 1, vcc
	v_and_or_b32 v5, v9, s10, v5
	v_sub_u32_e32 v14, 0x3f1, v12
	v_med3_i32 v9, v13, 0, 13
	v_and_or_b32 v7, v11, s10, v7
	v_or_b32_e32 v13, 0x1000, v5
	v_add_u32_e32 v10, 0xfffffc10, v10
	v_med3_i32 v11, v14, 0, 13
	v_cmp_ne_u32_e32 vcc, 0, v5
	v_or_b32_e32 v15, 0x1000, v7
	v_lshrrev_b32_e32 v17, v9, v13
	v_add_u32_e32 v12, 0xfffffc10, v12
	v_lshl_or_b32 v14, v10, 12, v5
	v_cndmask_b32_e64 v5, 0, 1, vcc
	v_cmp_ne_u32_e32 vcc, 0, v7
	v_lshrrev_b32_e32 v18, v11, v15
	v_lshlrev_b32_e32 v9, v9, v17
	v_lshl_or_b32 v16, v12, 12, v7
	v_cndmask_b32_e64 v7, 0, 1, vcc
	v_lshlrev_b32_e32 v11, v11, v18
	v_cmp_ne_u32_e32 vcc, v9, v13
	v_cndmask_b32_e64 v9, 0, 1, vcc
	v_cmp_ne_u32_e32 vcc, v11, v15
	v_cndmask_b32_e64 v11, 0, 1, vcc
	v_or_b32_e32 v9, v17, v9
	v_cmp_gt_i32_e32 vcc, 1, v10
	v_cndmask_b32_e32 v9, v14, v9, vcc
	v_or_b32_e32 v11, v18, v11
	v_cmp_gt_i32_e32 vcc, 1, v12
	v_and_b32_e32 v13, 7, v9
	v_cndmask_b32_e32 v11, v16, v11, vcc
	v_cmp_lt_i32_e32 vcc, 5, v13
	v_cmp_eq_u32_e64 s[0:1], 3, v13
	v_lshrrev_b32_e32 v9, 2, v9
	v_and_b32_e32 v14, 7, v11
	s_or_b64 vcc, s[0:1], vcc
	v_cmp_lt_i32_e64 s[2:3], 5, v14
	v_cmp_eq_u32_e64 s[4:5], 3, v14
	v_addc_co_u32_e32 v9, vcc, 0, v9, vcc
	v_lshrrev_b32_e32 v11, 2, v11
	s_or_b64 vcc, s[4:5], s[2:3]
	v_addc_co_u32_e32 v11, vcc, 0, v11, vcc
	v_cmp_gt_i32_e32 vcc, 31, v10
	v_cndmask_b32_e32 v9, v0, v9, vcc
	v_cmp_gt_i32_e32 vcc, 31, v12
	v_lshl_or_b32 v5, v5, 9, v0
	v_lshl_or_b32 v7, v7, 9, v0
	v_cndmask_b32_e32 v0, v0, v11, vcc
	v_cmp_eq_u32_e32 vcc, s18, v10
	v_lshrrev_b32_e32 v6, 16, v6
	v_cndmask_b32_e32 v5, v9, v5, vcc
	v_cmp_eq_u32_e32 vcc, s18, v12
	v_lshlrev_b64 v[3:4], 2, v[3:4]
	v_lshrrev_b32_e32 v8, 16, v8
	v_cndmask_b32_e32 v0, v0, v7, vcc
	v_and_or_b32 v5, v6, s17, v5
	v_and_or_b32 v0, v8, s17, v0
	v_and_b32_e32 v5, 0xffff, v5
	v_lshl_or_b32 v5, v0, 16, v5
	v_add_co_u32_e32 v0, vcc, v1, v3
	v_addc_co_u32_e32 v1, vcc, v2, v4, vcc
	global_store_dword v[0:1], v5, off
.LBB0_23:
	s_endpgm
	.section	.rodata,"a",@progbits
	.p2align	6, 0x0
	.amdhsa_kernel bluestein_single_back_len952_dim1_half_op_CI_CI
		.amdhsa_group_segment_fixed_size 11424
		.amdhsa_private_segment_fixed_size 44
		.amdhsa_kernarg_size 104
		.amdhsa_user_sgpr_count 6
		.amdhsa_user_sgpr_private_segment_buffer 1
		.amdhsa_user_sgpr_dispatch_ptr 0
		.amdhsa_user_sgpr_queue_ptr 0
		.amdhsa_user_sgpr_kernarg_segment_ptr 1
		.amdhsa_user_sgpr_dispatch_id 0
		.amdhsa_user_sgpr_flat_scratch_init 0
		.amdhsa_user_sgpr_private_segment_size 0
		.amdhsa_uses_dynamic_stack 0
		.amdhsa_system_sgpr_private_segment_wavefront_offset 1
		.amdhsa_system_sgpr_workgroup_id_x 1
		.amdhsa_system_sgpr_workgroup_id_y 0
		.amdhsa_system_sgpr_workgroup_id_z 0
		.amdhsa_system_sgpr_workgroup_info 0
		.amdhsa_system_vgpr_workitem_id 0
		.amdhsa_next_free_vgpr 256
		.amdhsa_next_free_sgpr 52
		.amdhsa_reserve_vcc 1
		.amdhsa_reserve_flat_scratch 0
		.amdhsa_float_round_mode_32 0
		.amdhsa_float_round_mode_16_64 0
		.amdhsa_float_denorm_mode_32 3
		.amdhsa_float_denorm_mode_16_64 3
		.amdhsa_dx10_clamp 1
		.amdhsa_ieee_mode 1
		.amdhsa_fp16_overflow 0
		.amdhsa_exception_fp_ieee_invalid_op 0
		.amdhsa_exception_fp_denorm_src 0
		.amdhsa_exception_fp_ieee_div_zero 0
		.amdhsa_exception_fp_ieee_overflow 0
		.amdhsa_exception_fp_ieee_underflow 0
		.amdhsa_exception_fp_ieee_inexact 0
		.amdhsa_exception_int_div_zero 0
	.end_amdhsa_kernel
	.text
.Lfunc_end0:
	.size	bluestein_single_back_len952_dim1_half_op_CI_CI, .Lfunc_end0-bluestein_single_back_len952_dim1_half_op_CI_CI
                                        ; -- End function
	.section	.AMDGPU.csdata,"",@progbits
; Kernel info:
; codeLenInByte = 30404
; NumSgprs: 56
; NumVgprs: 256
; ScratchSize: 44
; MemoryBound: 0
; FloatMode: 240
; IeeeMode: 1
; LDSByteSize: 11424 bytes/workgroup (compile time only)
; SGPRBlocks: 6
; VGPRBlocks: 63
; NumSGPRsForWavesPerEU: 56
; NumVGPRsForWavesPerEU: 256
; Occupancy: 1
; WaveLimiterHint : 1
; COMPUTE_PGM_RSRC2:SCRATCH_EN: 1
; COMPUTE_PGM_RSRC2:USER_SGPR: 6
; COMPUTE_PGM_RSRC2:TRAP_HANDLER: 0
; COMPUTE_PGM_RSRC2:TGID_X_EN: 1
; COMPUTE_PGM_RSRC2:TGID_Y_EN: 0
; COMPUTE_PGM_RSRC2:TGID_Z_EN: 0
; COMPUTE_PGM_RSRC2:TIDIG_COMP_CNT: 0
	.type	__hip_cuid_54ec43e5b82c46d8,@object ; @__hip_cuid_54ec43e5b82c46d8
	.section	.bss,"aw",@nobits
	.globl	__hip_cuid_54ec43e5b82c46d8
__hip_cuid_54ec43e5b82c46d8:
	.byte	0                               ; 0x0
	.size	__hip_cuid_54ec43e5b82c46d8, 1

	.ident	"AMD clang version 19.0.0git (https://github.com/RadeonOpenCompute/llvm-project roc-6.4.0 25133 c7fe45cf4b819c5991fe208aaa96edf142730f1d)"
	.section	".note.GNU-stack","",@progbits
	.addrsig
	.addrsig_sym __hip_cuid_54ec43e5b82c46d8
	.amdgpu_metadata
---
amdhsa.kernels:
  - .args:
      - .actual_access:  read_only
        .address_space:  global
        .offset:         0
        .size:           8
        .value_kind:     global_buffer
      - .actual_access:  read_only
        .address_space:  global
        .offset:         8
        .size:           8
        .value_kind:     global_buffer
      - .actual_access:  read_only
        .address_space:  global
        .offset:         16
        .size:           8
        .value_kind:     global_buffer
      - .actual_access:  read_only
        .address_space:  global
        .offset:         24
        .size:           8
        .value_kind:     global_buffer
      - .actual_access:  read_only
        .address_space:  global
        .offset:         32
        .size:           8
        .value_kind:     global_buffer
      - .offset:         40
        .size:           8
        .value_kind:     by_value
      - .address_space:  global
        .offset:         48
        .size:           8
        .value_kind:     global_buffer
      - .address_space:  global
        .offset:         56
        .size:           8
        .value_kind:     global_buffer
      - .address_space:  global
        .offset:         64
        .size:           8
        .value_kind:     global_buffer
      - .address_space:  global
        .offset:         72
        .size:           8
        .value_kind:     global_buffer
      - .offset:         80
        .size:           4
        .value_kind:     by_value
      - .address_space:  global
        .offset:         88
        .size:           8
        .value_kind:     global_buffer
      - .address_space:  global
        .offset:         96
        .size:           8
        .value_kind:     global_buffer
    .group_segment_fixed_size: 11424
    .kernarg_segment_align: 8
    .kernarg_segment_size: 104
    .language:       OpenCL C
    .language_version:
      - 2
      - 0
    .max_flat_workgroup_size: 204
    .name:           bluestein_single_back_len952_dim1_half_op_CI_CI
    .private_segment_fixed_size: 44
    .sgpr_count:     56
    .sgpr_spill_count: 0
    .symbol:         bluestein_single_back_len952_dim1_half_op_CI_CI.kd
    .uniform_work_group_size: 1
    .uses_dynamic_stack: false
    .vgpr_count:     256
    .vgpr_spill_count: 10
    .wavefront_size: 64
amdhsa.target:   amdgcn-amd-amdhsa--gfx906
amdhsa.version:
  - 1
  - 2
...

	.end_amdgpu_metadata
